;; amdgpu-corpus repo=ROCm/rocFFT kind=compiled arch=gfx1201 opt=O3
	.text
	.amdgcn_target "amdgcn-amd-amdhsa--gfx1201"
	.amdhsa_code_object_version 6
	.protected	bluestein_single_back_len272_dim1_half_op_CI_CI ; -- Begin function bluestein_single_back_len272_dim1_half_op_CI_CI
	.globl	bluestein_single_back_len272_dim1_half_op_CI_CI
	.p2align	8
	.type	bluestein_single_back_len272_dim1_half_op_CI_CI,@function
bluestein_single_back_len272_dim1_half_op_CI_CI: ; @bluestein_single_back_len272_dim1_half_op_CI_CI
; %bb.0:
	s_load_b128 s[16:19], s[0:1], 0x28
	v_mul_u32_u24_e32 v1, 0xf10, v0
	s_mov_b32 s2, exec_lo
	s_delay_alu instid0(VALU_DEP_1) | instskip(NEXT) | instid1(VALU_DEP_1)
	v_lshrrev_b32_e32 v1, 16, v1
	v_mad_co_u64_u32 v[24:25], null, ttmp9, 7, v[1:2]
	v_mov_b32_e32 v25, 0
	s_wait_kmcnt 0x0
	s_delay_alu instid0(VALU_DEP_1)
	v_cmpx_gt_u64_e64 s[16:17], v[24:25]
	s_cbranch_execz .LBB0_10
; %bb.1:
	s_clause 0x1
	s_load_b128 s[4:7], s[0:1], 0x18
	s_load_b128 s[8:11], s[0:1], 0x0
	v_mul_lo_u16 v1, v1, 17
	s_load_b64 s[0:1], s[0:1], 0x38
	s_delay_alu instid0(VALU_DEP_1) | instskip(NEXT) | instid1(VALU_DEP_1)
	v_sub_nc_u16 v0, v0, v1
	v_and_b32_e32 v69, 0xffff, v0
	s_wait_kmcnt 0x0
	s_load_b128 s[12:15], s[4:5], 0x0
	s_wait_kmcnt 0x0
	v_mad_co_u64_u32 v[1:2], null, s14, v24, 0
	v_mad_co_u64_u32 v[3:4], null, s12, v69, 0
	s_mul_u64 s[2:3], s[12:13], 0x44
	s_delay_alu instid0(VALU_DEP_1) | instskip(NEXT) | instid1(VALU_DEP_1)
	v_mad_co_u64_u32 v[5:6], null, s15, v24, v[2:3]
	v_mov_b32_e32 v2, v5
	s_delay_alu instid0(VALU_DEP_3)
	v_mad_co_u64_u32 v[6:7], null, s13, v69, v[4:5]
	v_lshlrev_b32_e32 v78, 2, v69
	s_clause 0x7
	global_load_b32 v72, v78, s[8:9]
	global_load_b32 v73, v78, s[8:9] offset:68
	global_load_b32 v71, v78, s[8:9] offset:136
	global_load_b32 v67, v78, s[8:9] offset:204
	global_load_b32 v65, v78, s[8:9] offset:272
	global_load_b32 v63, v78, s[8:9] offset:340
	global_load_b32 v61, v78, s[8:9] offset:408
	global_load_b32 v59, v78, s[8:9] offset:476
	v_mov_b32_e32 v4, v6
	v_lshlrev_b64_e32 v[1:2], 2, v[1:2]
	s_delay_alu instid0(VALU_DEP_2) | instskip(NEXT) | instid1(VALU_DEP_2)
	v_lshlrev_b64_e32 v[3:4], 2, v[3:4]
	v_add_co_u32 v1, vcc_lo, s18, v1
	s_delay_alu instid0(VALU_DEP_3) | instskip(NEXT) | instid1(VALU_DEP_2)
	v_add_co_ci_u32_e32 v2, vcc_lo, s19, v2, vcc_lo
	v_add_co_u32 v1, vcc_lo, v1, v3
	s_wait_alu 0xfffd
	s_delay_alu instid0(VALU_DEP_2)
	v_add_co_ci_u32_e32 v2, vcc_lo, v2, v4, vcc_lo
	global_load_b32 v5, v[1:2], off
	v_add_co_u32 v1, vcc_lo, v1, s2
	s_wait_alu 0xfffd
	v_add_co_ci_u32_e32 v2, vcc_lo, s3, v2, vcc_lo
	s_clause 0x7
	global_load_b32 v57, v78, s[8:9] offset:544
	global_load_b32 v55, v78, s[8:9] offset:612
	;; [unrolled: 1-line block ×8, first 2 shown]
	v_add_co_u32 v3, vcc_lo, v1, s2
	s_wait_alu 0xfffd
	v_add_co_ci_u32_e32 v4, vcc_lo, s3, v2, vcc_lo
	global_load_b32 v6, v[1:2], off
	v_add_co_u32 v1, vcc_lo, v3, s2
	s_wait_alu 0xfffd
	v_add_co_ci_u32_e32 v2, vcc_lo, s3, v4, vcc_lo
	s_clause 0x1
	global_load_b32 v7, v[3:4], off
	global_load_b32 v8, v[1:2], off
	v_add_co_u32 v1, vcc_lo, v1, s2
	s_wait_alu 0xfffd
	v_add_co_ci_u32_e32 v2, vcc_lo, s3, v2, vcc_lo
	s_delay_alu instid0(VALU_DEP_2) | instskip(SKIP_1) | instid1(VALU_DEP_2)
	v_add_co_u32 v3, vcc_lo, v1, s2
	s_wait_alu 0xfffd
	v_add_co_ci_u32_e32 v4, vcc_lo, s3, v2, vcc_lo
	global_load_b32 v9, v[1:2], off
	v_add_co_u32 v1, vcc_lo, v3, s2
	s_wait_alu 0xfffd
	v_add_co_ci_u32_e32 v2, vcc_lo, s3, v4, vcc_lo
	global_load_b32 v10, v[3:4], off
	global_load_b32 v11, v[1:2], off
	v_add_co_u32 v1, vcc_lo, v1, s2
	s_wait_alu 0xfffd
	v_add_co_ci_u32_e32 v2, vcc_lo, s3, v2, vcc_lo
	s_delay_alu instid0(VALU_DEP_2) | instskip(SKIP_1) | instid1(VALU_DEP_2)
	v_add_co_u32 v3, vcc_lo, v1, s2
	s_wait_alu 0xfffd
	v_add_co_ci_u32_e32 v4, vcc_lo, s3, v2, vcc_lo
	global_load_b32 v12, v[1:2], off
	v_add_co_u32 v1, vcc_lo, v3, s2
	s_wait_alu 0xfffd
	v_add_co_ci_u32_e32 v2, vcc_lo, s3, v4, vcc_lo
	;; [unrolled: 13-line block ×3, first 2 shown]
	global_load_b32 v16, v[3:4], off
	v_add_co_u32 v3, vcc_lo, v1, s2
	s_wait_alu 0xfffd
	v_add_co_ci_u32_e32 v4, vcc_lo, s3, v2, vcc_lo
	global_load_b32 v17, v[1:2], off
	v_add_co_u32 v1, vcc_lo, v3, s2
	s_wait_alu 0xfffd
	v_add_co_ci_u32_e32 v2, vcc_lo, s3, v4, vcc_lo
	;; [unrolled: 4-line block ×3, first 2 shown]
	global_load_b32 v1, v[1:2], off
	global_load_b32 v2, v[3:4], off
	v_mul_hi_u32 v3, 0x24924925, v24
	s_load_b128 s[4:7], s[6:7], 0x0
	v_add_co_u32 v25, s2, s8, v78
	v_cmp_gt_u16_e32 vcc_lo, 16, v0
	v_lshlrev_b32_e32 v0, 4, v69
	s_wait_alu 0xf1ff
	v_add_co_ci_u32_e64 v26, null, s9, 0, s2
	v_sub_nc_u32_e32 v4, v24, v3
	s_delay_alu instid0(VALU_DEP_1) | instskip(NEXT) | instid1(VALU_DEP_1)
	v_lshrrev_b32_e32 v4, 1, v4
	v_add_nc_u32_e32 v3, v4, v3
	s_delay_alu instid0(VALU_DEP_1) | instskip(NEXT) | instid1(VALU_DEP_1)
	v_lshrrev_b32_e32 v3, 2, v3
	v_mul_lo_u32 v3, v3, 7
	s_delay_alu instid0(VALU_DEP_1) | instskip(NEXT) | instid1(VALU_DEP_1)
	v_sub_nc_u32_e32 v3, v24, v3
	v_mul_u32_u24_e32 v19, 0x110, v3
	s_delay_alu instid0(VALU_DEP_1) | instskip(NEXT) | instid1(VALU_DEP_1)
	v_lshlrev_b32_e32 v77, 2, v19
	v_add_nc_u32_e32 v48, v78, v77
	v_lshl_add_u32 v79, v69, 6, v77
	s_wait_loadcnt 0x1f
	v_lshrrev_b32_e32 v76, 16, v72
	s_wait_loadcnt 0x1e
	v_lshrrev_b32_e32 v75, 16, v73
	s_wait_loadcnt 0x1d
	v_lshrrev_b32_e32 v74, 16, v71
	s_wait_loadcnt 0x1c
	v_lshrrev_b32_e32 v70, 16, v67
	s_wait_loadcnt 0x1b
	v_lshrrev_b32_e32 v68, 16, v65
	s_wait_loadcnt 0x1a
	v_lshrrev_b32_e32 v66, 16, v63
	s_wait_loadcnt 0x19
	v_lshrrev_b32_e32 v64, 16, v61
	s_wait_loadcnt 0x18
	v_lshrrev_b32_e32 v62, 16, v59
	s_wait_loadcnt 0x16
	v_lshrrev_b32_e32 v60, 16, v57
	s_wait_loadcnt 0x15
	v_lshrrev_b32_e32 v58, 16, v55
	v_lshrrev_b32_e32 v3, 16, v5
	v_mul_f16_e32 v4, v76, v5
	s_wait_loadcnt 0x14
	v_lshrrev_b32_e32 v56, 16, v54
	s_wait_loadcnt 0x13
	v_lshrrev_b32_e32 v53, 16, v52
	;; [unrolled: 2-line block ×3, first 2 shown]
	v_mul_f16_e32 v20, v76, v3
	v_fma_f16 v3, v72, v3, -v4
	s_wait_loadcnt 0x11
	v_lshrrev_b32_e32 v49, 16, v47
	s_wait_loadcnt 0x10
	v_lshrrev_b32_e32 v46, 16, v45
	;; [unrolled: 2-line block ×4, first 2 shown]
	v_mul_f16_e32 v22, v75, v6
	v_fmac_f16_e32 v20, v72, v5
	s_delay_alu instid0(VALU_DEP_3)
	v_mul_f16_e32 v4, v75, v21
	s_wait_loadcnt 0xd
	v_lshrrev_b32_e32 v5, 16, v7
	v_fma_f16 v21, v73, v21, -v22
	v_mul_f16_e32 v22, v74, v7
	v_pack_b32_f16 v3, v20, v3
	v_fmac_f16_e32 v4, v73, v6
	v_mul_f16_e32 v6, v74, v5
	s_wait_loadcnt 0xc
	v_lshrrev_b32_e32 v20, 16, v8
	v_mul_f16_e32 v23, v70, v8
	v_fma_f16 v5, v71, v5, -v22
	v_pack_b32_f16 v4, v4, v21
	v_fmac_f16_e32 v6, v71, v7
	v_mul_f16_e32 v7, v70, v20
	s_wait_loadcnt 0xb
	v_lshrrev_b32_e32 v21, 16, v9
	v_fma_f16 v20, v67, v20, -v23
	v_mul_f16_e32 v22, v68, v9
	ds_store_2addr_b32 v48, v3, v4 offset1:17
	v_pack_b32_f16 v3, v6, v5
	v_fmac_f16_e32 v7, v67, v8
	v_mul_f16_e32 v4, v68, v21
	s_wait_loadcnt 0xa
	v_lshrrev_b32_e32 v5, 16, v10
	v_mul_f16_e32 v6, v66, v10
	v_fma_f16 v8, v65, v21, -v22
	v_pack_b32_f16 v7, v7, v20
	v_fmac_f16_e32 v4, v65, v9
	v_mul_f16_e32 v9, v66, v5
	v_fma_f16 v5, v63, v5, -v6
	s_wait_loadcnt 0x9
	v_lshrrev_b32_e32 v6, 16, v11
	v_mul_f16_e32 v20, v64, v11
	ds_store_2addr_b32 v48, v3, v7 offset0:34 offset1:51
	v_pack_b32_f16 v3, v4, v8
	v_fmac_f16_e32 v9, v63, v10
	v_mul_f16_e32 v4, v64, v6
	s_wait_loadcnt 0x8
	v_lshrrev_b32_e32 v7, 16, v12
	v_mul_f16_e32 v8, v62, v12
	v_fma_f16 v6, v61, v6, -v20
	v_pack_b32_f16 v5, v9, v5
	v_fmac_f16_e32 v4, v61, v11
	v_mul_f16_e32 v9, v62, v7
	v_fma_f16 v7, v59, v7, -v8
	s_wait_loadcnt 0x7
	v_lshrrev_b32_e32 v8, 16, v13
	v_mul_f16_e32 v10, v60, v13
	ds_store_2addr_b32 v48, v3, v5 offset0:68 offset1:85
	v_pack_b32_f16 v3, v4, v6
	v_fmac_f16_e32 v9, v59, v12
	v_mul_f16_e32 v4, v60, v8
	s_wait_loadcnt 0x6
	v_lshrrev_b32_e32 v5, 16, v14
	v_fma_f16 v6, v57, v8, -v10
	v_mul_f16_e32 v8, v58, v14
	v_pack_b32_f16 v7, v9, v7
	v_fmac_f16_e32 v4, v57, v13
	v_mul_f16_e32 v9, v58, v5
	s_wait_loadcnt 0x5
	v_lshrrev_b32_e32 v10, 16, v15
	v_mul_f16_e32 v11, v56, v15
	v_fma_f16 v5, v55, v5, -v8
	v_pack_b32_f16 v4, v4, v6
	v_fmac_f16_e32 v9, v55, v14
	v_mul_f16_e32 v6, v56, v10
	v_fma_f16 v8, v54, v10, -v11
	s_wait_loadcnt 0x4
	v_lshrrev_b32_e32 v10, 16, v16
	v_mul_f16_e32 v11, v53, v16
	v_pack_b32_f16 v5, v9, v5
	v_fmac_f16_e32 v6, v54, v15
	s_wait_loadcnt 0x3
	v_lshrrev_b32_e32 v9, 16, v17
	v_mul_f16_e32 v12, v53, v10
	v_fma_f16 v10, v52, v10, -v11
	v_mul_f16_e32 v11, v51, v17
	s_wait_loadcnt 0x2
	v_lshrrev_b32_e32 v13, 16, v18
	v_pack_b32_f16 v6, v6, v8
	v_mul_f16_e32 v8, v51, v9
	v_fmac_f16_e32 v12, v52, v16
	v_fma_f16 v9, v50, v9, -v11
	v_mul_f16_e32 v11, v49, v18
	s_wait_loadcnt 0x1
	v_lshrrev_b32_e32 v14, 16, v1
	s_wait_loadcnt 0x0
	v_lshrrev_b32_e32 v16, 16, v2
	v_mul_f16_e32 v15, v49, v13
	v_fmac_f16_e32 v8, v50, v17
	v_fma_f16 v11, v47, v13, -v11
	v_mul_f16_e32 v13, v46, v1
	v_mul_f16_e32 v17, v46, v14
	;; [unrolled: 1-line block ×4, first 2 shown]
	v_fmac_f16_e32 v15, v47, v18
	v_fma_f16 v13, v45, v14, -v13
	v_fmac_f16_e32 v17, v45, v1
	v_fma_f16 v1, v43, v16, -v20
	v_fmac_f16_e32 v21, v43, v2
	v_pack_b32_f16 v2, v12, v10
	v_pack_b32_f16 v8, v8, v9
	;; [unrolled: 1-line block ×5, first 2 shown]
	ds_store_2addr_b32 v48, v3, v7 offset0:102 offset1:119
	ds_store_2addr_b32 v48, v4, v5 offset0:136 offset1:153
	;; [unrolled: 1-line block ×5, first 2 shown]
	global_wb scope:SCOPE_SE
	s_wait_dscnt 0x0
	s_wait_kmcnt 0x0
	s_barrier_signal -1
	s_barrier_wait -1
	global_inv scope:SCOPE_SE
	ds_load_2addr_b32 v[1:2], v48 offset1:17
	ds_load_2addr_b32 v[3:4], v48 offset0:34 offset1:51
	ds_load_2addr_b32 v[5:6], v48 offset0:68 offset1:85
	;; [unrolled: 1-line block ×7, first 2 shown]
	v_or_b32_e32 v17, v19, v69
	global_wb scope:SCOPE_SE
	s_wait_dscnt 0x0
	s_barrier_signal -1
	s_barrier_wait -1
	global_inv scope:SCOPE_SE
	v_lshlrev_b32_e32 v97, 2, v17
	v_pk_add_f16 v9, v1, v9 neg_lo:[0,1] neg_hi:[0,1]
	v_pk_add_f16 v11, v5, v11 neg_lo:[0,1] neg_hi:[0,1]
	;; [unrolled: 1-line block ×8, first 2 shown]
	v_lshrrev_b32_e32 v17, 16, v11
	v_lshrrev_b32_e32 v18, 16, v9
	;; [unrolled: 1-line block ×8, first 2 shown]
	v_pk_fma_f16 v1, v1, 2.0, v9 op_sel_hi:[1,0,1] neg_lo:[0,0,1] neg_hi:[0,0,1]
	v_pk_fma_f16 v5, v5, 2.0, v11 op_sel_hi:[1,0,1] neg_lo:[0,0,1] neg_hi:[0,0,1]
	;; [unrolled: 1-line block ×8, first 2 shown]
	v_sub_f16_e32 v17, v9, v17
	v_add_f16_e32 v11, v18, v11
	v_sub_f16_e32 v19, v13, v19
	v_add_f16_e32 v15, v20, v15
	;; [unrolled: 2-line block ×4, first 2 shown]
	v_pk_add_f16 v5, v1, v5 neg_lo:[0,1] neg_hi:[0,1]
	v_pk_add_f16 v7, v3, v7 neg_lo:[0,1] neg_hi:[0,1]
	;; [unrolled: 1-line block ×4, first 2 shown]
	v_fma_f16 v9, v9, 2.0, -v17
	v_fma_f16 v18, v18, 2.0, -v11
	;; [unrolled: 1-line block ×8, first 2 shown]
	v_fmamk_f16 v33, v19, 0x39a8, v17
	v_fmamk_f16 v36, v15, 0x39a8, v11
	v_lshrrev_b32_e32 v28, 16, v7
	v_lshrrev_b32_e32 v29, 16, v5
	;; [unrolled: 1-line block ×4, first 2 shown]
	v_fmamk_f16 v34, v23, 0x39a8, v21
	v_fmamk_f16 v35, v16, 0x39a8, v12
	;; [unrolled: 1-line block ×4, first 2 shown]
	v_fmac_f16_e32 v33, 0xb9a8, v15
	v_fmac_f16_e32 v36, 0x39a8, v19
	v_fmamk_f16 v15, v14, 0xb9a8, v10
	v_fmamk_f16 v19, v27, 0xb9a8, v22
	v_pk_fma_f16 v1, v1, 2.0, v5 op_sel_hi:[1,0,1] neg_lo:[0,0,1] neg_hi:[0,0,1]
	v_pk_fma_f16 v3, v3, 2.0, v7 op_sel_hi:[1,0,1] neg_lo:[0,0,1] neg_hi:[0,0,1]
	;; [unrolled: 1-line block ×4, first 2 shown]
	v_sub_f16_e32 v37, v5, v28
	v_add_f16_e32 v7, v29, v7
	v_sub_f16_e32 v38, v6, v30
	v_add_f16_e32 v8, v31, v8
	v_fmac_f16_e32 v34, 0xb9a8, v16
	v_fmac_f16_e32 v35, 0x39a8, v23
	;; [unrolled: 1-line block ×6, first 2 shown]
	v_pk_add_f16 v3, v1, v3 neg_lo:[0,1] neg_hi:[0,1]
	v_pk_add_f16 v4, v2, v4 neg_lo:[0,1] neg_hi:[0,1]
	v_fma_f16 v5, v5, 2.0, -v37
	v_fma_f16 v13, v29, 2.0, -v7
	;; [unrolled: 1-line block ×8, first 2 shown]
	v_fmamk_f16 v99, v35, 0x3b64, v36
	v_fma_f16 v9, v9, 2.0, -v41
	v_fma_f16 v18, v18, 2.0, -v42
	;; [unrolled: 1-line block ×4, first 2 shown]
	v_pk_fma_f16 v1, v1, 2.0, v3 op_sel_hi:[1,0,1] neg_lo:[0,0,1] neg_hi:[0,0,1]
	v_pk_fma_f16 v2, v2, 2.0, v4 op_sel_hi:[1,0,1] neg_lo:[0,0,1] neg_hi:[0,0,1]
	v_fmamk_f16 v27, v38, 0x39a8, v37
	v_fmamk_f16 v28, v34, 0x3b64, v33
	;; [unrolled: 1-line block ×7, first 2 shown]
	v_fmac_f16_e32 v99, 0x361f, v34
	v_fmamk_f16 v34, v10, 0xbb64, v9
	v_fmamk_f16 v103, v22, 0xbb64, v18
	v_lshrrev_b32_e32 v21, 16, v4
	v_lshrrev_b32_e32 v23, 16, v3
	v_fmamk_f16 v98, v8, 0x39a8, v7
	v_fmamk_f16 v32, v15, 0x361f, v41
	v_pk_add_f16 v20, v1, v2 neg_lo:[0,1] neg_hi:[0,1]
	v_fmac_f16_e32 v27, 0xb9a8, v8
	v_fmac_f16_e32 v29, 0xb9a8, v14
	;; [unrolled: 1-line block ×8, first 2 shown]
	v_sub_f16_e32 v31, v3, v21
	v_add_f16_e32 v102, v23, v4
	v_fmac_f16_e32 v98, 0x39a8, v38
	v_fmac_f16_e32 v28, 0xb61f, v35
	v_fmac_f16_e32 v32, 0xbb64, v19
	v_pk_fma_f16 v16, v1, 2.0, v20 op_sel_hi:[1,0,1] neg_lo:[0,0,1] neg_hi:[0,0,1]
	v_fma_f16 v39, v37, 2.0, -v27
	v_fma_f16 v37, v5, 2.0, -v29
	;; [unrolled: 1-line block ×14, first 2 shown]
	v_pack_b32_f16 v23, v30, v101
	v_pack_b32_f16 v22, v29, v100
	;; [unrolled: 1-line block ×3, first 2 shown]
	v_lshrrev_b32_e32 v96, 16, v16
	v_pack_b32_f16 v4, v28, v99
	v_pack_b32_f16 v3, v27, v98
	;; [unrolled: 1-line block ×11, first 2 shown]
	ds_store_b128 v79, v[20:23] offset:32
	ds_store_b128 v79, v[1:4] offset:48
	ds_store_b128 v79, v[16:19]
	ds_store_b128 v79, v[5:8] offset:16
	global_wb scope:SCOPE_SE
	s_wait_dscnt 0x0
	s_barrier_signal -1
	s_barrier_wait -1
	global_inv scope:SCOPE_SE
                                        ; implicit-def: $vgpr17
                                        ; implicit-def: $vgpr18
	s_and_saveexec_b32 s2, vcc_lo
	s_cbranch_execz .LBB0_3
; %bb.2:
	ds_load_2addr_b32 v[41:42], v97 offset1:16
	ds_load_2addr_b32 v[37:38], v97 offset0:32 offset1:48
	ds_load_2addr_b32 v[35:36], v97 offset0:64 offset1:80
	ds_load_2addr_b32 v[39:40], v97 offset0:96 offset1:112
	ds_load_2addr_b32 v[33:34], v97 offset0:128 offset1:144
	ds_load_2addr_b32 v[29:30], v97 offset0:160 offset1:176
	ds_load_2addr_b32 v[31:32], v97 offset0:192 offset1:208
	ds_load_2addr_b32 v[27:28], v97 offset0:224 offset1:240
	ds_load_b32 v17, v97 offset:1024
	s_wait_dscnt 0x8
	v_lshrrev_b32_e32 v96, 16, v41
	v_lshrrev_b32_e32 v126, 16, v42
	s_wait_dscnt 0x7
	v_lshrrev_b32_e32 v123, 16, v37
	v_lshrrev_b32_e32 v124, 16, v38
	;; [unrolled: 3-line block ×4, first 2 shown]
	s_wait_dscnt 0x4
	v_lshrrev_b32_e32 v103, 16, v34
	s_wait_dscnt 0x3
	v_lshrrev_b32_e32 v100, 16, v29
	v_lshrrev_b32_e32 v101, 16, v30
	s_wait_dscnt 0x2
	v_lshrrev_b32_e32 v102, 16, v31
	;; [unrolled: 3-line block ×4, first 2 shown]
	v_mov_b32_e32 v16, v41
	v_mov_b32_e32 v20, v33
.LBB0_3:
	s_wait_alu 0xfffe
	s_or_b32 exec_lo, exec_lo, s2
	v_and_b32_e32 v0, 0xf0, v0
	s_delay_alu instid0(VALU_DEP_2) | instskip(NEXT) | instid1(VALU_DEP_2)
	v_lshrrev_b32_e32 v19, 16, v20
	v_lshlrev_b32_e32 v12, 2, v0
	s_clause 0x3
	global_load_b128 v[8:11], v12, s[10:11]
	global_load_b128 v[0:3], v12, s[10:11] offset:16
	global_load_b128 v[4:7], v12, s[10:11] offset:32
	;; [unrolled: 1-line block ×3, first 2 shown]
	s_wait_loadcnt 0x3
	v_lshrrev_b32_e32 v93, 16, v8
	v_lshrrev_b32_e32 v91, 16, v9
	s_wait_loadcnt 0x2
	v_lshrrev_b32_e32 v85, 16, v0
	s_wait_loadcnt 0x0
	v_lshrrev_b32_e32 v94, 16, v15
	v_lshrrev_b32_e32 v88, 16, v12
	;; [unrolled: 1-line block ×3, first 2 shown]
	v_mul_f16_e32 v21, v126, v93
	v_mul_f16_e32 v116, v42, v93
	;; [unrolled: 1-line block ×3, first 2 shown]
	v_mul_f16_e64 v146, v18, v94
	v_mul_f16_e32 v114, v17, v94
	v_lshrrev_b32_e32 v89, 16, v10
	v_lshrrev_b32_e32 v87, 16, v11
	;; [unrolled: 1-line block ×3, first 2 shown]
	v_mul_f16_e32 v22, v123, v91
	v_mul_f16_e32 v120, v36, v85
	v_mul_f16_e64 v143, v95, v88
	v_mul_f16_e64 v145, v99, v92
	v_mul_f16_e32 v113, v28, v92
	v_fma_f16 v138, v42, v8, -v21
	v_fmac_f16_e32 v116, v126, v8
	v_fmac_f16_e32 v117, v123, v9
	v_fma_f16 v123, v17, v15, -v146
	v_fmac_f16_e32 v114, v18, v15
	v_mul_f16_e32 v23, v124, v89
	v_mul_f16_e32 v118, v38, v89
	;; [unrolled: 1-line block ×5, first 2 shown]
	v_mul_f16_e64 v144, v98, v90
	v_mul_f16_e32 v111, v27, v90
	v_fma_f16 v137, v37, v9, -v22
	v_fmac_f16_e32 v120, v125, v0
	v_fma_f16 v126, v32, v12, -v143
	v_fma_f16 v125, v28, v14, -v145
	v_fmac_f16_e32 v113, v99, v14
	v_sub_f16_e64 v32, v138, v123
	v_sub_f16_e64 v158, v116, v114
	v_lshrrev_b32_e32 v83, 16, v1
	v_lshrrev_b32_e32 v81, 16, v2
	;; [unrolled: 1-line block ×5, first 2 shown]
	v_mul_f16_e32 v119, v35, v87
	v_fma_f16 v135, v38, v10, -v23
	v_fma_f16 v134, v35, v11, -v33
	;; [unrolled: 1-line block ×3, first 2 shown]
	v_fmac_f16_e32 v118, v124, v10
	v_fma_f16 v124, v27, v13, -v144
	v_fmac_f16_e32 v111, v98, v13
	v_add_f16_e64 v155, v138, v123
	v_add_f16_e32 v35, v116, v114
	v_sub_f16_e64 v36, v137, v125
	v_sub_f16_e32 v27, v117, v113
	v_mul_f16_e64 v154, 0xb5c8, v158
	v_mul_f16_e64 v152, 0xb5c8, v32
	v_lshrrev_b32_e32 v41, 16, v3
	v_mul_f16_e64 v128, v105, v83
	v_mul_f16_e64 v129, v106, v81
	;; [unrolled: 1-line block ×5, first 2 shown]
	v_mul_f16_e32 v107, v31, v86
	v_fmac_f16_e32 v119, v104, v11
	v_fmac_f16_e32 v108, v95, v12
	v_add_f16_e64 v18, v137, v125
	v_add_f16_e32 v38, v117, v113
	v_sub_f16_e64 v33, v135, v124
	v_sub_f16_e32 v28, v118, v111
	v_mul_f16_e64 v150, 0xb964, v27
	v_mul_f16_e64 v153, 0xb964, v36
	v_fma_f16 v42, 0x3b76, v155, v154
	v_fma_f16 v95, v35, 0x3b76, -v152
	v_mul_f16_e32 v121, v39, v83
	v_mul_f16_e32 v122, v40, v81
	;; [unrolled: 1-line block ×5, first 2 shown]
	v_fma_f16 v131, v39, v1, -v128
	v_fma_f16 v130, v40, v2, -v129
	;; [unrolled: 1-line block ×5, first 2 shown]
	v_fmac_f16_e32 v107, v102, v7
	v_add_f16_e64 v17, v135, v124
	v_add_f16_e32 v37, v118, v111
	v_sub_f16_e32 v29, v119, v108
	v_sub_f16_e64 v40, v134, v126
	v_mul_f16_e64 v146, 0xbb29, v28
	v_mul_f16_e64 v149, 0xbb29, v33
	v_fma_f16 v141, 0x39e9, v18, v150
	v_fma_f16 v145, v38, 0x39e9, -v153
	v_add_f16_e32 v42, v16, v42
	v_add_f16_e32 v95, v96, v95
	v_lshrrev_b32_e32 v80, 16, v4
	v_mul_f16_e64 v132, v19, v41
	v_fmac_f16_e32 v121, v105, v1
	v_fmac_f16_e32 v115, v19, v3
	;; [unrolled: 1-line block ×3, first 2 shown]
	v_add_f16_e64 v19, v134, v126
	v_add_f16_e32 v98, v119, v108
	v_sub_f16_e32 v30, v120, v107
	v_sub_f16_e64 v99, v133, v127
	v_mul_f16_e64 v142, 0xbbf7, v29
	v_mul_f16_e64 v147, 0xbbf7, v40
	v_fma_f16 v148, 0x3722, v17, v146
	v_fma_f16 v151, v37, 0x3722, -v149
	v_add_f16_e64 v42, v141, v42
	v_add_f16_e64 v95, v145, v95
	v_mul_f16_e64 v139, v103, v80
	v_mul_f16_e32 v112, v34, v80
	v_fmac_f16_e32 v122, v106, v2
	v_fma_f16 v136, v20, v3, -v132
	v_fmac_f16_e32 v110, v100, v5
	v_add_f16_e64 v20, v133, v127
	v_add_f16_e32 v100, v120, v107
	v_sub_f16_e32 v31, v121, v109
	v_sub_f16_e64 v101, v131, v128
	v_mul_f16_e64 v140, 0xbbb2, v30
	v_mul_f16_e64 v143, 0xbbb2, v99
	v_fma_f16 v145, 0x2de8, v19, v142
	v_fma_f16 v156, v98, 0x2de8, -v147
	v_add_f16_e64 v42, v148, v42
	v_add_f16_e64 v95, v151, v95
	v_fma_f16 v132, v34, v4, -v139
	v_fmac_f16_e32 v112, v103, v4
	v_add_f16_e64 v21, v131, v128
	v_add_f16_e32 v102, v121, v109
	v_sub_f16_e32 v34, v122, v110
	v_sub_f16_e64 v103, v130, v129
	v_mul_f16_e64 v139, 0xba62, v31
	v_mul_f16_e64 v144, 0xba62, v101
	v_fma_f16 v151, 0xb461, v20, v140
	v_fma_f16 v157, v100, 0xb461, -v143
	v_add_f16_e64 v42, v145, v42
	v_add_f16_e64 v95, v156, v95
	;; [unrolled: 1-line block ×3, first 2 shown]
	v_add_f16_e32 v104, v122, v110
	v_sub_f16_e32 v39, v115, v112
	v_sub_f16_e64 v105, v136, v132
	v_mul_f16_e64 v141, 0xb836, v34
	v_mul_f16_e64 v148, 0xb836, v103
	v_fma_f16 v156, 0xb8d2, v21, v139
	v_fma_f16 v159, v102, 0xb8d2, -v144
	v_add_f16_e64 v42, v151, v42
	v_add_f16_e64 v95, v157, v95
	;; [unrolled: 1-line block ×3, first 2 shown]
	v_add_f16_e32 v106, v115, v112
	v_mul_f16_e64 v145, 0xb1e1, v39
	v_mul_f16_e64 v151, 0xb1e1, v105
	v_fma_f16 v157, 0xbacd, v22, v141
	v_fma_f16 v160, v104, 0xbacd, -v148
	v_add_f16_e64 v42, v156, v42
	v_add_f16_e64 v95, v159, v95
	v_fma_f16 v156, 0xbbdd, v23, v145
	v_fma_f16 v159, v106, 0xbbdd, -v151
	s_delay_alu instid0(VALU_DEP_4) | instskip(NEXT) | instid1(VALU_DEP_4)
	v_add_f16_e64 v42, v157, v42
	v_add_f16_e64 v95, v160, v95
	s_delay_alu instid0(VALU_DEP_2) | instskip(NEXT) | instid1(VALU_DEP_2)
	v_add_f16_e64 v42, v156, v42
	v_add_f16_e64 v95, v159, v95
	s_and_saveexec_b32 s2, vcc_lo
	s_cbranch_execz .LBB0_5
; %bb.4:
	v_add_f16_e64 v138, v16, v138
	v_add_f16_e32 v116, v96, v116
	v_mul_f16_e64 v156, 0xb964, v158
	v_mul_f16_e64 v157, 0xbb29, v158
	v_mul_f16_e64 v159, 0xb1e1, v158
	v_add_f16_e64 v137, v138, v137
	v_add_f16_e32 v116, v116, v117
	v_mul_f16_e64 v160, 0xbbf7, v158
	v_mul_f16_e64 v161, 0xb836, v158
	;; [unrolled: 1-line block ×3, first 2 shown]
	v_add_f16_e64 v117, v137, v135
	v_add_f16_e32 v116, v116, v118
	v_mul_f16_e64 v158, 0xba62, v158
	v_fma_f16 v163, 0xbbdd, v155, v159
	v_fma_f16 v164, v155, 0xbbdd, -v159
	v_add_f16_e64 v117, v117, v134
	v_add_f16_e32 v116, v116, v119
	v_fma_f16 v165, 0xbacd, v155, v161
	v_fma_f16 v161, v155, 0xbacd, -v161
	v_fma_f16 v166, 0xb8d2, v155, v158
	v_add_f16_e64 v117, v117, v133
	v_add_f16_e32 v116, v116, v120
	v_fma_f16 v167, v155, 0xb8d2, -v158
	v_fma_f16 v168, 0xb461, v155, v162
	v_fma_f16 v162, v155, 0xb461, -v162
	v_add_f16_e64 v117, v117, v131
	v_add_f16_e32 v116, v116, v121
	v_fma_f16 v158, 0x2de8, v155, v160
	v_fma_f16 v169, v155, 0x2de8, -v160
	v_fma_f16 v159, 0x3722, v155, v157
	v_add_f16_e64 v117, v117, v130
	v_add_f16_e32 v116, v116, v122
	v_fma_f16 v170, v155, 0x3722, -v157
	v_fma_f16 v157, 0x39e9, v155, v156
	v_fma_f16 v171, v155, 0x39e9, -v156
	v_add_f16_e64 v117, v117, v136
	v_add_f16_e32 v115, v116, v115
	v_mul_f16_e64 v155, 0x3b76, v155
	v_mul_f16_e32 v122, 0x39e9, v38
	v_add_f16_e64 v160, v16, v157
	v_add_f16_e64 v116, v117, v132
	v_add_f16_e32 v112, v115, v112
	v_sub_f16_e64 v172, v155, v154
	v_add_f16_e64 v154, v16, v163
	v_add_f16_e64 v163, v16, v164
	;; [unrolled: 1-line block ×3, first 2 shown]
	v_add_f16_e32 v110, v112, v110
	v_add_f16_e64 v164, v16, v167
	v_add_f16_e64 v167, v16, v171
	;; [unrolled: 1-line block ×4, first 2 shown]
	v_add_f16_e32 v109, v110, v109
	v_add_f16_e64 v159, v16, v159
	v_add_f16_e64 v158, v16, v158
	;; [unrolled: 1-line block ×3, first 2 shown]
	v_add_f16_e32 v110, v112, v127
	v_add_f16_e32 v107, v109, v107
	v_mul_f16_e32 v112, 0xbbdd, v98
	v_add_f16_e64 v156, v16, v166
	v_add_f16_e64 v155, v16, v165
	v_add_f16_e32 v109, v110, v126
	v_add_f16_e32 v107, v107, v108
	v_add_f16_e64 v161, v16, v161
	v_add_f16_e64 v162, v16, v162
	;; [unrolled: 1-line block ×3, first 2 shown]
	v_add_f16_e32 v108, v109, v124
	v_add_f16_e32 v107, v107, v111
	v_add_f16_e64 v166, v16, v170
	v_add_f16_e64 v16, v16, v172
	v_mul_f16_e32 v124, 0x3b29, v34
	v_add_f16_e32 v108, v108, v125
	v_add_f16_e32 v107, v107, v113
	v_fmamk_f16 v113, v40, 0x31e1, v112
	v_fmac_f16_e32 v112, 0xb1e1, v40
	v_fma_f16 v125, v22, 0x3722, -v124
	v_add_f16_e32 v108, v108, v123
	v_add_f16_e32 v107, v107, v114
	v_mul_f16_e32 v123, 0x39e9, v18
	v_mul_f16_e64 v129, 0xbacd, v102
	v_mul_f16_e64 v133, 0xb8d2, v38
	;; [unrolled: 1-line block ×3, first 2 shown]
	v_pack_b32_f16 v107, v108, v107
	v_mul_f16_e32 v108, 0x2de8, v38
	v_sub_f16_e64 v123, v123, v150
	v_fma_f16 v130, 0x3836, v101, v129
	v_fmac_f16_e64 v129, 0xb836, v101
	ds_store_b32 v97, v107
	v_mul_f16_e32 v97, 0x39e9, v35
	v_fmamk_f16 v109, v36, 0x3bf7, v108
	v_fmac_f16_e32 v108, 0xbbf7, v36
	v_add_f16_e32 v16, v123, v16
	v_mul_f16_e32 v123, 0x3722, v17
	v_fmamk_f16 v107, v32, 0x3964, v97
	v_fmac_f16_e32 v97, 0xb964, v32
	v_fma_f16 v134, 0x3a62, v36, v133
	v_fmac_f16_e64 v133, 0xba62, v36
	v_sub_f16_e64 v123, v123, v146
	v_fma_f16 v180, 0xb836, v36, v179
	v_add_f16_e32 v97, v96, v97
	v_fmac_f16_e64 v179, 0x3836, v36
	v_add_f16_e32 v107, v96, v107
	v_add_f16_e32 v16, v123, v16
	v_mul_f16_e32 v123, 0x2de8, v19
	v_add_f16_e32 v97, v108, v97
	v_mul_f16_e32 v108, 0xb8d2, v37
	v_add_f16_e32 v107, v109, v107
	s_delay_alu instid0(VALU_DEP_4) | instskip(NEXT) | instid1(VALU_DEP_3)
	v_sub_f16_e64 v123, v123, v142
	v_fmamk_f16 v110, v33, 0x3a62, v108
	v_fmac_f16_e32 v108, 0xba62, v33
	s_delay_alu instid0(VALU_DEP_3) | instskip(SKIP_1) | instid1(VALU_DEP_3)
	v_add_f16_e32 v16, v123, v16
	v_mul_f16_e32 v123, 0xb461, v20
	v_add_f16_e32 v97, v108, v97
	v_mul_f16_e32 v108, 0xbbf7, v27
	s_delay_alu instid0(VALU_DEP_3) | instskip(NEXT) | instid1(VALU_DEP_3)
	v_sub_f16_e64 v123, v123, v140
	v_add_f16_e32 v97, v112, v97
	s_delay_alu instid0(VALU_DEP_3) | instskip(SKIP_1) | instid1(VALU_DEP_4)
	v_fma_f16 v111, v18, 0x2de8, -v108
	v_mul_f16_e32 v112, 0xba62, v28
	v_add_f16_e32 v16, v123, v16
	v_mul_f16_e32 v123, 0xb8d2, v21
	s_delay_alu instid0(VALU_DEP_4) | instskip(NEXT) | instid1(VALU_DEP_4)
	v_add_f16_e64 v111, v111, v167
	v_fma_f16 v114, v17, 0xb8d2, -v112
	s_delay_alu instid0(VALU_DEP_3) | instskip(NEXT) | instid1(VALU_DEP_2)
	v_sub_f16_e64 v123, v123, v139
	v_add_f16_e32 v111, v114, v111
	v_mul_f16_e32 v114, 0xbacd, v100
	s_delay_alu instid0(VALU_DEP_3) | instskip(SKIP_1) | instid1(VALU_DEP_3)
	v_add_f16_e32 v16, v123, v16
	v_mul_f16_e32 v123, 0xbacd, v22
	v_fmamk_f16 v115, v99, 0xb836, v114
	v_fmac_f16_e32 v114, 0x3836, v99
	s_delay_alu instid0(VALU_DEP_3) | instskip(NEXT) | instid1(VALU_DEP_2)
	v_sub_f16_e64 v123, v123, v141
	v_add_f16_e32 v97, v114, v97
	v_mul_f16_e32 v114, 0xb1e1, v29
	s_delay_alu instid0(VALU_DEP_3) | instskip(SKIP_1) | instid1(VALU_DEP_3)
	v_add_f16_e32 v16, v123, v16
	v_mul_f16_e32 v123, 0xbbdd, v23
	v_fma_f16 v116, v19, 0xbbdd, -v114
	s_delay_alu instid0(VALU_DEP_2) | instskip(NEXT) | instid1(VALU_DEP_2)
	v_sub_f16_e64 v123, v123, v145
	v_add_f16_e32 v111, v116, v111
	v_mul_f16_e32 v116, 0xb461, v102
	s_delay_alu instid0(VALU_DEP_3) | instskip(NEXT) | instid1(VALU_DEP_2)
	v_add_f16_e32 v16, v123, v16
	v_fmamk_f16 v117, v101, 0xbbb2, v116
	v_fmac_f16_e32 v116, 0x3bb2, v101
	s_delay_alu instid0(VALU_DEP_1) | instskip(SKIP_1) | instid1(VALU_DEP_1)
	v_add_f16_e32 v97, v116, v97
	v_mul_f16_e32 v116, 0x3836, v30
	v_fma_f16 v118, v20, 0xbacd, -v116
	s_delay_alu instid0(VALU_DEP_1) | instskip(SKIP_1) | instid1(VALU_DEP_1)
	v_add_f16_e32 v111, v118, v111
	v_mul_f16_e32 v118, 0x3722, v104
	v_fmamk_f16 v119, v103, 0xbb29, v118
	v_fmac_f16_e32 v118, 0x3b29, v103
	s_delay_alu instid0(VALU_DEP_1) | instskip(SKIP_1) | instid1(VALU_DEP_1)
	v_add_f16_e32 v97, v118, v97
	v_mul_f16_e32 v118, 0x3bb2, v31
	v_fma_f16 v120, v21, 0xb461, -v118
	s_delay_alu instid0(VALU_DEP_1) | instskip(SKIP_1) | instid1(VALU_DEP_2)
	v_add_f16_e32 v111, v120, v111
	v_mul_f16_e32 v120, 0x3b76, v106
	v_add_f16_e32 v111, v125, v111
	s_delay_alu instid0(VALU_DEP_2) | instskip(SKIP_1) | instid1(VALU_DEP_1)
	v_fmamk_f16 v121, v105, 0xb5c8, v120
	v_fmac_f16_e32 v120, 0x35c8, v105
	v_add_f16_e32 v97, v120, v97
	v_mul_f16_e32 v120, 0x3b76, v35
	s_delay_alu instid0(VALU_DEP_1) | instskip(NEXT) | instid1(VALU_DEP_1)
	v_add_f16_e64 v120, v152, v120
	v_add_f16_e32 v120, v96, v120
	s_delay_alu instid0(VALU_DEP_1) | instskip(SKIP_1) | instid1(VALU_DEP_1)
	v_add_f16_e32 v120, v122, v120
	v_mul_f16_e32 v122, 0x3722, v37
	v_add_f16_e64 v122, v149, v122
	s_delay_alu instid0(VALU_DEP_1) | instskip(SKIP_1) | instid1(VALU_DEP_1)
	v_add_f16_e32 v120, v122, v120
	v_mul_f16_e32 v122, 0x2de8, v98
	v_add_f16_e64 v122, v147, v122
	;; [unrolled: 4-line block ×4, first 2 shown]
	v_mul_f16_e64 v144, 0x3a62, v34
	s_delay_alu instid0(VALU_DEP_2) | instskip(SKIP_1) | instid1(VALU_DEP_3)
	v_add_f16_e32 v120, v122, v120
	v_mul_f16_e32 v122, 0xbacd, v104
	v_fma_f16 v145, v22, 0xb8d2, -v144
	s_delay_alu instid0(VALU_DEP_2) | instskip(NEXT) | instid1(VALU_DEP_1)
	v_add_f16_e64 v122, v148, v122
	v_add_f16_e32 v120, v122, v120
	v_mul_f16_e32 v122, 0xbbdd, v106
	s_delay_alu instid0(VALU_DEP_1) | instskip(NEXT) | instid1(VALU_DEP_1)
	v_add_f16_e64 v122, v151, v122
	v_add_f16_e32 v120, v122, v120
	v_mul_f16_e32 v122, 0x35c8, v39
	s_delay_alu instid0(VALU_DEP_2) | instskip(NEXT) | instid1(VALU_DEP_2)
	v_pack_b32_f16 v16, v16, v120
	v_fma_f16 v123, v23, 0x3b76, -v122
	v_mul_f16_e32 v120, 0xbbdd, v38
	s_delay_alu instid0(VALU_DEP_2) | instskip(NEXT) | instid1(VALU_DEP_2)
	v_add_f16_e32 v111, v123, v111
	v_fmamk_f16 v123, v36, 0x31e1, v120
	v_fmac_f16_e32 v120, 0xb1e1, v36
	s_delay_alu instid0(VALU_DEP_3) | instskip(SKIP_3) | instid1(VALU_DEP_1)
	v_pack_b32_f16 v97, v111, v97
	v_lshl_add_u32 v111, v69, 2, v77
	ds_store_2addr_b32 v111, v16, v97 offset0:16 offset1:32
	v_mul_f16_e32 v16, 0x2de8, v35
	v_fmamk_f16 v97, v32, 0x3bf7, v16
	v_fmac_f16_e32 v16, 0xbbf7, v32
	s_delay_alu instid0(VALU_DEP_2) | instskip(NEXT) | instid1(VALU_DEP_2)
	v_add_f16_e32 v97, v96, v97
	v_add_f16_e32 v16, v96, v16
	s_delay_alu instid0(VALU_DEP_2) | instskip(NEXT) | instid1(VALU_DEP_2)
	v_add_f16_e32 v97, v123, v97
	v_add_f16_e32 v16, v120, v16
	v_mul_f16_e32 v120, 0xb461, v37
	s_delay_alu instid0(VALU_DEP_1) | instskip(SKIP_1) | instid1(VALU_DEP_2)
	v_fmamk_f16 v125, v33, 0xbbb2, v120
	v_fmac_f16_e32 v120, 0x3bb2, v33
	v_add_f16_e32 v97, v125, v97
	s_delay_alu instid0(VALU_DEP_2) | instskip(SKIP_1) | instid1(VALU_DEP_1)
	v_add_f16_e32 v16, v120, v16
	v_mul_f16_e32 v120, 0x3b76, v98
	v_fmamk_f16 v126, v40, 0xb5c8, v120
	v_fmac_f16_e32 v120, 0x35c8, v40
	s_delay_alu instid0(VALU_DEP_2) | instskip(NEXT) | instid1(VALU_DEP_2)
	v_add_f16_e32 v97, v126, v97
	v_add_f16_e32 v16, v120, v16
	v_mul_f16_e32 v120, 0x3722, v100
	s_delay_alu instid0(VALU_DEP_1) | instskip(SKIP_1) | instid1(VALU_DEP_2)
	v_fmamk_f16 v127, v99, 0x3b29, v120
	v_fmac_f16_e32 v120, 0xbb29, v99
	v_add_f16_e32 v97, v127, v97
	s_delay_alu instid0(VALU_DEP_2) | instskip(SKIP_1) | instid1(VALU_DEP_3)
	v_add_f16_e32 v16, v120, v16
	v_mul_f16_e32 v120, 0xb1e1, v27
	v_add_f16_e64 v97, v130, v97
	s_delay_alu instid0(VALU_DEP_3) | instskip(NEXT) | instid1(VALU_DEP_3)
	v_add_f16_e64 v16, v129, v16
	v_fma_f16 v128, v18, 0xbbdd, -v120
	v_mul_f16_e64 v129, 0x3bb2, v28
	s_delay_alu instid0(VALU_DEP_2) | instskip(NEXT) | instid1(VALU_DEP_2)
	v_add_f16_e64 v128, v128, v165
	v_fma_f16 v131, v17, 0xb461, -v129
	s_delay_alu instid0(VALU_DEP_1) | instskip(SKIP_1) | instid1(VALU_DEP_1)
	v_add_f16_e64 v128, v131, v128
	v_mul_f16_e64 v131, 0x3722, v35
	v_fma_f16 v132, 0x3b29, v32, v131
	v_fmac_f16_e64 v131, 0xbb29, v32
	s_delay_alu instid0(VALU_DEP_1) | instskip(NEXT) | instid1(VALU_DEP_1)
	v_add_f16_e64 v131, v96, v131
	v_add_f16_e64 v131, v133, v131
	v_mul_f16_e64 v133, 0xb8d2, v104
	s_delay_alu instid0(VALU_DEP_1) | instskip(SKIP_1) | instid1(VALU_DEP_2)
	v_fma_f16 v135, 0xba62, v103, v133
	v_fmac_f16_e64 v133, 0x3a62, v103
	v_add_f16_e64 v97, v135, v97
	s_delay_alu instid0(VALU_DEP_2) | instskip(SKIP_1) | instid1(VALU_DEP_1)
	v_add_f16_e64 v16, v133, v16
	v_mul_f16_e64 v133, 0x35c8, v29
	v_fma_f16 v136, v19, 0x3b76, -v133
	s_delay_alu instid0(VALU_DEP_1) | instskip(SKIP_1) | instid1(VALU_DEP_1)
	v_add_f16_e64 v128, v136, v128
	v_mul_f16_e64 v136, 0xbbdd, v37
	v_fma_f16 v137, 0xb1e1, v33, v136
	v_fmac_f16_e64 v136, 0x31e1, v33
	s_delay_alu instid0(VALU_DEP_1) | instskip(SKIP_1) | instid1(VALU_DEP_1)
	v_add_f16_e64 v131, v136, v131
	v_mul_f16_e64 v136, 0x39e9, v106
	v_fma_f16 v138, 0xb964, v105, v136
	v_fmac_f16_e64 v136, 0x3964, v105
	s_delay_alu instid0(VALU_DEP_2) | instskip(NEXT) | instid1(VALU_DEP_2)
	v_add_f16_e64 v97, v138, v97
	v_add_f16_e64 v16, v136, v16
	v_mul_f16_e64 v136, 0xbb29, v30
	s_delay_alu instid0(VALU_DEP_1) | instskip(NEXT) | instid1(VALU_DEP_1)
	v_fma_f16 v139, v20, 0x3722, -v136
	v_add_f16_e64 v128, v139, v128
	v_mul_f16_e64 v139, 0xb461, v98
	s_delay_alu instid0(VALU_DEP_1) | instskip(SKIP_1) | instid1(VALU_DEP_1)
	v_fma_f16 v140, 0xbbb2, v40, v139
	v_fmac_f16_e64 v139, 0x3bb2, v40
	v_add_f16_e64 v131, v139, v131
	v_mul_f16_e64 v139, 0xb836, v31
	s_delay_alu instid0(VALU_DEP_1) | instskip(NEXT) | instid1(VALU_DEP_1)
	v_fma_f16 v141, v21, 0xbacd, -v139
	v_add_f16_e64 v128, v141, v128
	v_mul_f16_e64 v141, 0x39e9, v100
	s_delay_alu instid0(VALU_DEP_2) | instskip(NEXT) | instid1(VALU_DEP_2)
	v_add_f16_e64 v128, v145, v128
	v_fma_f16 v142, 0xb964, v99, v141
	v_fmac_f16_e64 v141, 0x3964, v99
	v_mul_f16_e64 v145, 0x3b76, v102
	s_delay_alu instid0(VALU_DEP_2) | instskip(SKIP_1) | instid1(VALU_DEP_3)
	v_add_f16_e64 v131, v141, v131
	v_mul_f16_e64 v141, 0xba62, v27
	v_fma_f16 v146, 0x35c8, v101, v145
	v_fmac_f16_e64 v145, 0xb5c8, v101
	s_delay_alu instid0(VALU_DEP_3) | instskip(NEXT) | instid1(VALU_DEP_2)
	v_fma_f16 v143, v18, 0xb8d2, -v141
	v_add_f16_e64 v131, v145, v131
	v_mul_f16_e64 v145, 0x31e1, v28
	s_delay_alu instid0(VALU_DEP_3) | instskip(NEXT) | instid1(VALU_DEP_2)
	v_add_f16_e64 v143, v143, v166
	v_fma_f16 v147, v17, 0xbbdd, -v145
	v_fma_f16 v109, 0xbbdd, v17, v145
	s_delay_alu instid0(VALU_DEP_2) | instskip(SKIP_1) | instid1(VALU_DEP_1)
	v_add_f16_e64 v143, v147, v143
	v_mul_f16_e64 v147, 0x2de8, v104
	v_fma_f16 v148, 0x3bf7, v103, v147
	v_fmac_f16_e64 v147, 0xbbf7, v103
	s_delay_alu instid0(VALU_DEP_1) | instskip(SKIP_1) | instid1(VALU_DEP_1)
	v_add_f16_e64 v131, v147, v131
	v_mul_f16_e64 v147, 0x3bb2, v29
	v_fma_f16 v149, v19, 0xb461, -v147
	s_delay_alu instid0(VALU_DEP_1) | instskip(SKIP_1) | instid1(VALU_DEP_1)
	v_add_f16_e64 v143, v149, v143
	v_mul_f16_e64 v149, 0xbacd, v106
	v_fma_f16 v150, 0x3836, v105, v149
	v_fmac_f16_e64 v149, 0xb836, v105
	s_delay_alu instid0(VALU_DEP_1) | instskip(SKIP_1) | instid1(VALU_DEP_1)
	v_add_f16_e64 v131, v149, v131
	v_mul_f16_e64 v149, 0x3964, v30
	v_fma_f16 v151, v20, 0x39e9, -v149
	s_delay_alu instid0(VALU_DEP_1) | instskip(SKIP_1) | instid1(VALU_DEP_1)
	v_add_f16_e64 v143, v151, v143
	v_mul_f16_e64 v151, 0xb5c8, v31
	v_fma_f16 v152, v21, 0x3b76, -v151
	;; [unrolled: 4-line block ×4, first 2 shown]
	s_delay_alu instid0(VALU_DEP_1) | instskip(SKIP_1) | instid1(VALU_DEP_2)
	v_add_f16_e64 v143, v165, v143
	v_mul_f16_e64 v165, 0x3964, v39
	v_pack_b32_f16 v131, v143, v131
	s_delay_alu instid0(VALU_DEP_2) | instskip(NEXT) | instid1(VALU_DEP_1)
	v_fma_f16 v166, v23, 0x39e9, -v165
	v_add_f16_e64 v128, v166, v128
	s_delay_alu instid0(VALU_DEP_1) | instskip(SKIP_3) | instid1(VALU_DEP_2)
	v_pack_b32_f16 v16, v128, v16
	ds_store_2addr_b32 v111, v131, v16 offset0:48 offset1:64
	v_mul_f16_e32 v16, 0xb8d2, v35
	v_mul_f16_e64 v131, 0xb461, v38
	v_fma_f16 v128, 0x3a62, v32, v16
	v_fmac_f16_e32 v16, 0xba62, v32
	s_delay_alu instid0(VALU_DEP_3) | instskip(SKIP_1) | instid1(VALU_DEP_3)
	v_fma_f16 v143, 0xbbb2, v36, v131
	v_fmac_f16_e64 v131, 0x3bb2, v36
	v_add_f16_e32 v16, v96, v16
	s_delay_alu instid0(VALU_DEP_1) | instskip(SKIP_1) | instid1(VALU_DEP_1)
	v_add_f16_e64 v16, v131, v16
	v_mul_f16_e64 v131, 0x3b76, v37
	v_fma_f16 v166, 0x35c8, v33, v131
	v_fmac_f16_e64 v131, 0xb5c8, v33
	s_delay_alu instid0(VALU_DEP_1) | instskip(SKIP_1) | instid1(VALU_DEP_1)
	v_add_f16_e64 v16, v131, v16
	v_mul_f16_e64 v131, 0xbacd, v98
	v_fma_f16 v167, 0x3836, v40, v131
	v_fmac_f16_e64 v131, 0xb836, v40
	;; [unrolled: 5-line block ×6, first 2 shown]
	s_delay_alu instid0(VALU_DEP_1) | instskip(SKIP_1) | instid1(VALU_DEP_1)
	v_add_f16_e64 v16, v131, v16
	v_mul_f16_e64 v131, 0x3bb2, v27
	v_fma_f16 v172, v18, 0xb461, -v131
	s_delay_alu instid0(VALU_DEP_1) | instskip(SKIP_1) | instid1(VALU_DEP_1)
	v_add_f16_e64 v164, v172, v164
	v_mul_f16_e64 v172, 0xb5c8, v28
	v_fma_f16 v173, v17, 0x3b76, -v172
	;; [unrolled: 4-line block ×6, first 2 shown]
	s_delay_alu instid0(VALU_DEP_1) | instskip(SKIP_1) | instid1(VALU_DEP_1)
	v_add_f16_e64 v164, v177, v164
	v_mul_f16_e64 v177, 0xb461, v35
	v_fma_f16 v178, 0x3bb2, v32, v177
	v_fmac_f16_e64 v177, 0xbbb2, v32
	s_delay_alu instid0(VALU_DEP_1) | instskip(NEXT) | instid1(VALU_DEP_1)
	v_add_f16_e64 v177, v96, v177
	v_add_f16_e64 v177, v179, v177
	v_mul_f16_e64 v179, 0x39e9, v37
	s_delay_alu instid0(VALU_DEP_1) | instskip(SKIP_1) | instid1(VALU_DEP_1)
	v_fma_f16 v181, 0xb964, v33, v179
	v_fmac_f16_e64 v179, 0x3964, v33
	v_add_f16_e64 v177, v179, v177
	v_mul_f16_e64 v179, 0x3722, v98
	s_delay_alu instid0(VALU_DEP_1) | instskip(SKIP_1) | instid1(VALU_DEP_1)
	v_fma_f16 v182, 0x3b29, v40, v179
	v_fmac_f16_e64 v179, 0xbb29, v40
	;; [unrolled: 5-line block ×3, first 2 shown]
	v_add_f16_e64 v177, v179, v177
	v_mul_f16_e64 v179, 0x3836, v27
	s_delay_alu instid0(VALU_DEP_1) | instskip(NEXT) | instid1(VALU_DEP_1)
	v_fma_f16 v184, v18, 0xbacd, -v179
	v_add_f16_e64 v162, v184, v162
	v_mul_f16_e64 v184, 0x2de8, v102
	s_delay_alu instid0(VALU_DEP_1) | instskip(SKIP_1) | instid1(VALU_DEP_1)
	v_fma_f16 v185, 0xbbf7, v101, v184
	v_fmac_f16_e64 v184, 0x3bf7, v101
	v_add_f16_e64 v177, v184, v177
	v_mul_f16_e64 v184, 0x3964, v28
	s_delay_alu instid0(VALU_DEP_1) | instskip(NEXT) | instid1(VALU_DEP_1)
	v_fma_f16 v186, v17, 0x39e9, -v184
	v_add_f16_e64 v162, v186, v162
	v_mul_f16_e64 v186, 0x3b76, v104
	s_delay_alu instid0(VALU_DEP_1) | instskip(SKIP_1) | instid1(VALU_DEP_1)
	v_fma_f16 v187, 0x35c8, v103, v186
	v_fmac_f16_e64 v186, 0xb5c8, v103
	v_add_f16_e64 v177, v186, v177
	v_mul_f16_e64 v186, 0xbb29, v29
	s_delay_alu instid0(VALU_DEP_1) | instskip(NEXT) | instid1(VALU_DEP_1)
	v_fma_f16 v188, v19, 0x3722, -v186
	v_add_f16_e64 v162, v188, v162
	v_mul_f16_e64 v188, 0xb1e1, v30
	s_delay_alu instid0(VALU_DEP_1) | instskip(NEXT) | instid1(VALU_DEP_1)
	v_fma_f16 v189, v20, 0xbbdd, -v188
	;; [unrolled: 4-line block ×3, first 2 shown]
	v_add_f16_e64 v162, v190, v162
	v_mul_f16_e64 v190, 0xb8d2, v106
	s_delay_alu instid0(VALU_DEP_1) | instskip(SKIP_1) | instid1(VALU_DEP_1)
	v_fma_f16 v191, 0x3a62, v105, v190
	v_fmac_f16_e64 v190, 0xba62, v105
	v_add_f16_e64 v177, v190, v177
	v_mul_f16_e64 v190, 0xb5c8, v34
	s_delay_alu instid0(VALU_DEP_1) | instskip(NEXT) | instid1(VALU_DEP_1)
	v_fma_f16 v192, v22, 0x3b76, -v190
	v_add_f16_e64 v162, v192, v162
	v_mul_f16_e64 v192, 0xba62, v39
	s_delay_alu instid0(VALU_DEP_1) | instskip(NEXT) | instid1(VALU_DEP_1)
	v_fma_f16 v193, v23, 0xb8d2, -v192
	v_add_f16_e64 v162, v193, v162
	v_mul_f16_e64 v193, 0x3b29, v39
	s_delay_alu instid0(VALU_DEP_2) | instskip(NEXT) | instid1(VALU_DEP_2)
	v_pack_b32_f16 v162, v162, v177
	v_fma_f16 v194, v23, 0x3722, -v193
	s_delay_alu instid0(VALU_DEP_1) | instskip(NEXT) | instid1(VALU_DEP_1)
	v_add_f16_e64 v164, v194, v164
	v_pack_b32_f16 v16, v164, v16
	v_mul_f16_e64 v164, 0x3b76, v38
	ds_store_2addr_b32 v111, v162, v16 offset0:80 offset1:96
	v_mul_f16_e32 v16, 0xbbdd, v35
	v_fma_f16 v177, 0xb5c8, v36, v164
	v_fmac_f16_e64 v164, 0x35c8, v36
	v_mul_f16_e32 v35, 0xbacd, v35
	s_delay_alu instid0(VALU_DEP_4) | instskip(SKIP_1) | instid1(VALU_DEP_1)
	v_fma_f16 v162, 0x31e1, v32, v16
	v_fmac_f16_e32 v16, 0xb1e1, v32
	v_add_f16_e32 v16, v96, v16
	s_delay_alu instid0(VALU_DEP_1) | instskip(SKIP_1) | instid1(VALU_DEP_1)
	v_add_f16_e64 v16, v164, v16
	v_mul_f16_e64 v164, 0xbacd, v37
	v_fma_f16 v194, 0x3836, v33, v164
	v_fmac_f16_e64 v164, 0xb836, v33
	s_delay_alu instid0(VALU_DEP_1) | instskip(SKIP_1) | instid1(VALU_DEP_1)
	v_add_f16_e64 v16, v164, v16
	v_mul_f16_e64 v164, 0x39e9, v98
	v_fma_f16 v195, 0xb964, v40, v164
	v_fmac_f16_e64 v164, 0x3964, v40
	;; [unrolled: 5-line block ×6, first 2 shown]
	s_delay_alu instid0(VALU_DEP_1) | instskip(SKIP_3) | instid1(VALU_DEP_2)
	v_add_f16_e64 v16, v164, v16
	v_fma_f16 v164, 0x3836, v32, v35
	v_fmac_f16_e32 v35, 0xb836, v32
	v_mul_f16_e32 v32, 0x3722, v38
	v_add_f16_e32 v35, v96, v35
	s_delay_alu instid0(VALU_DEP_2) | instskip(SKIP_1) | instid1(VALU_DEP_1)
	v_fmamk_f16 v38, v36, 0xbb29, v32
	v_fmac_f16_e32 v32, 0x3b29, v36
	v_add_f16_e32 v32, v32, v35
	v_mul_f16_e32 v35, 0x2de8, v37
	s_delay_alu instid0(VALU_DEP_1) | instskip(SKIP_3) | instid1(VALU_DEP_3)
	v_fmamk_f16 v36, v33, 0x3bf7, v35
	v_fmac_f16_e32 v35, 0xbbf7, v33
	v_mul_f16_e32 v33, 0x35c8, v27
	v_mul_f16_e32 v27, 0x3b29, v27
	v_add_f16_e32 v32, v35, v32
	v_mul_f16_e32 v35, 0xb8d2, v98
	s_delay_alu instid0(VALU_DEP_4) | instskip(NEXT) | instid1(VALU_DEP_2)
	v_fma_f16 v37, v18, 0x3b76, -v33
	v_fmamk_f16 v98, v40, 0xba62, v35
	v_fmac_f16_e32 v35, 0x3a62, v40
	v_mul_f16_e32 v40, 0xb836, v28
	v_mul_f16_e32 v28, 0xbbf7, v28
	v_add_f16_e64 v37, v37, v163
	s_delay_alu instid0(VALU_DEP_4) | instskip(SKIP_2) | instid1(VALU_DEP_2)
	v_add_f16_e32 v32, v35, v32
	v_mul_f16_e32 v35, 0x3b76, v100
	v_fma_f16 v163, v17, 0xbacd, -v40
	v_fmamk_f16 v100, v99, 0x35c8, v35
	v_fmac_f16_e32 v35, 0xb5c8, v99
	v_mul_f16_e32 v99, 0x3964, v29
	v_mul_f16_e32 v29, 0x3a62, v29
	v_add_f16_e64 v37, v163, v37
	s_delay_alu instid0(VALU_DEP_4) | instskip(SKIP_2) | instid1(VALU_DEP_2)
	v_add_f16_e32 v32, v35, v32
	v_mul_f16_e32 v35, 0xbbdd, v102
	;; [unrolled: 9-line block ×4, first 2 shown]
	v_fma_f16 v163, v21, 0x3722, -v103
	v_fmamk_f16 v106, v105, 0x3bb2, v35
	v_fmac_f16_e32 v35, 0xbbb2, v105
	v_mul_f16_e32 v105, 0xbbb2, v34
	v_mul_f16_e32 v34, 0x3964, v34
	v_add_f16_e64 v37, v163, v37
	s_delay_alu instid0(VALU_DEP_4) | instskip(SKIP_3) | instid1(VALU_DEP_3)
	v_add_f16_e32 v32, v35, v32
	v_fma_f16 v35, v18, 0x3722, -v27
	v_fma_f16 v163, v22, 0xb461, -v105
	v_fmamk_f16 v27, v18, 0x3722, v27
	v_add_f16_e64 v35, v35, v161
	v_fma_f16 v161, v17, 0x2de8, -v28
	s_delay_alu instid0(VALU_DEP_4) | instskip(NEXT) | instid1(VALU_DEP_4)
	v_add_f16_e64 v37, v163, v37
	v_add_f16_e64 v27, v27, v155
	v_fmamk_f16 v28, v17, 0x2de8, v28
	s_delay_alu instid0(VALU_DEP_4) | instskip(SKIP_2) | instid1(VALU_DEP_4)
	v_add_f16_e64 v35, v161, v35
	v_fma_f16 v161, v19, 0xb8d2, -v29
	v_fmamk_f16 v29, v19, 0xb8d2, v29
	v_add_f16_e32 v27, v28, v27
	s_delay_alu instid0(VALU_DEP_3) | instskip(SKIP_1) | instid1(VALU_DEP_3)
	v_add_f16_e64 v35, v161, v35
	v_fma_f16 v161, v20, 0x3b76, -v30
	v_add_f16_e32 v27, v29, v27
	v_fmamk_f16 v29, v20, 0x3b76, v30
	s_delay_alu instid0(VALU_DEP_3) | instskip(SKIP_1) | instid1(VALU_DEP_3)
	v_add_f16_e64 v35, v161, v35
	v_fma_f16 v161, v21, 0xbbdd, -v31
	v_add_f16_e32 v27, v29, v27
	v_fmamk_f16 v29, v21, 0xbbdd, v31
	s_delay_alu instid0(VALU_DEP_3) | instskip(SKIP_1) | instid1(VALU_DEP_1)
	v_add_f16_e64 v35, v161, v35
	v_fma_f16 v161, v22, 0x39e9, -v34
	v_add_f16_e64 v35, v161, v35
	v_mul_f16_e64 v161, 0xbbb2, v39
	v_mul_f16_e32 v39, 0x3bf7, v39
	s_delay_alu instid0(VALU_DEP_2) | instskip(NEXT) | instid1(VALU_DEP_1)
	v_fma_f16 v163, v23, 0xb461, -v161
	v_add_f16_e64 v35, v163, v35
	s_delay_alu instid0(VALU_DEP_3) | instskip(NEXT) | instid1(VALU_DEP_2)
	v_fma_f16 v163, v23, 0x2de8, -v39
	v_pack_b32_f16 v32, v35, v32
	s_delay_alu instid0(VALU_DEP_2)
	v_add_f16_e64 v37, v163, v37
	v_add_f16_e32 v35, v110, v107
	v_fmamk_f16 v107, v17, 0xb8d2, v112
	v_fma_f16 v110, 0xb461, v17, v129
	v_fma_f16 v112, 0xb8d2, v22, v144
	v_pack_b32_f16 v16, v37, v16
	v_fmamk_f16 v37, v18, 0x2de8, v108
	v_fmamk_f16 v108, v22, 0x3722, v124
	v_add_f16_e32 v35, v113, v35
	v_fma_f16 v113, 0xbacd, v18, v179
	s_delay_alu instid0(VALU_DEP_4) | instskip(NEXT) | instid1(VALU_DEP_3)
	v_add_f16_e64 v37, v37, v160
	v_add_f16_e32 v35, v115, v35
	s_delay_alu instid0(VALU_DEP_3) | instskip(SKIP_1) | instid1(VALU_DEP_4)
	v_add_f16_e64 v113, v113, v157
	v_fma_f16 v115, 0xb461, v18, v131
	v_add_f16_e32 v37, v107, v37
	v_fmamk_f16 v107, v19, 0xbbdd, v114
	v_fma_f16 v114, 0x39e9, v17, v184
	v_add_f16_e32 v35, v117, v35
	s_delay_alu instid0(VALU_DEP_3) | instskip(SKIP_1) | instid1(VALU_DEP_4)
	v_add_f16_e32 v37, v107, v37
	v_fmamk_f16 v107, v20, 0xbacd, v116
	v_add_f16_e32 v113, v114, v113
	v_fma_f16 v114, 0x3722, v19, v186
	v_add_f16_e32 v35, v119, v35
	s_delay_alu instid0(VALU_DEP_4) | instskip(SKIP_1) | instid1(VALU_DEP_4)
	v_add_f16_e32 v37, v107, v37
	v_fmamk_f16 v107, v21, 0xb461, v118
	v_add_f16_e32 v113, v114, v113
	v_fma_f16 v114, 0xbbdd, v20, v188
	v_add_f16_e32 v35, v121, v35
	s_delay_alu instid0(VALU_DEP_4) | instskip(SKIP_1) | instid1(VALU_DEP_4)
	v_add_f16_e32 v37, v107, v37
	v_add_f16_e64 v107, v96, v132
	v_add_f16_e32 v113, v114, v113
	v_fma_f16 v114, 0x2de8, v21, v189
	s_delay_alu instid0(VALU_DEP_4) | instskip(SKIP_2) | instid1(VALU_DEP_4)
	v_add_f16_e32 v37, v108, v37
	v_fma_f16 v108, 0xb8d2, v18, v141
	v_add_f16_e64 v107, v134, v107
	v_add_f16_e32 v113, v114, v113
	v_fma_f16 v114, 0x3b76, v22, v190
	s_delay_alu instid0(VALU_DEP_4) | instskip(NEXT) | instid1(VALU_DEP_4)
	v_add_f16_e64 v108, v108, v159
	v_add_f16_e64 v107, v137, v107
	s_delay_alu instid0(VALU_DEP_3) | instskip(SKIP_1) | instid1(VALU_DEP_4)
	v_add_f16_e32 v113, v114, v113
	v_add_f16_e64 v114, v96, v164
	v_add_f16_e32 v108, v109, v108
	v_fma_f16 v109, 0xb461, v19, v147
	v_add_f16_e64 v107, v140, v107
	s_delay_alu instid0(VALU_DEP_4) | instskip(SKIP_1) | instid1(VALU_DEP_4)
	v_add_f16_e32 v38, v38, v114
	v_fma_f16 v114, 0x3b76, v17, v172
	v_add_f16_e32 v108, v109, v108
	v_fma_f16 v109, 0x39e9, v20, v149
	v_fmamk_f16 v17, v17, 0xbacd, v40
	v_add_f16_e32 v36, v36, v38
	v_add_f16_e64 v107, v142, v107
	s_delay_alu instid0(VALU_DEP_4) | instskip(SKIP_1) | instid1(VALU_DEP_3)
	v_add_f16_e32 v108, v109, v108
	v_fma_f16 v109, 0x3b76, v21, v151
	v_add_f16_e64 v107, v146, v107
	s_delay_alu instid0(VALU_DEP_2) | instskip(SKIP_1) | instid1(VALU_DEP_3)
	v_add_f16_e32 v108, v109, v108
	v_fmamk_f16 v109, v23, 0x3b76, v122
	v_add_f16_e64 v107, v148, v107
	s_delay_alu instid0(VALU_DEP_2) | instskip(SKIP_1) | instid1(VALU_DEP_3)
	v_add_f16_e32 v37, v109, v37
	v_fma_f16 v109, 0x2de8, v22, v152
	v_add_f16_e64 v107, v150, v107
	s_delay_alu instid0(VALU_DEP_2) | instskip(SKIP_3) | instid1(VALU_DEP_3)
	v_add_f16_e32 v108, v109, v108
	v_fmamk_f16 v109, v18, 0xbbdd, v120
	v_fmamk_f16 v18, v18, 0x3b76, v33
	v_add_f16_e64 v33, v115, v156
	v_add_f16_e64 v109, v109, v158
	s_delay_alu instid0(VALU_DEP_3) | instskip(NEXT) | instid1(VALU_DEP_3)
	v_add_f16_e64 v18, v18, v154
	v_add_f16_e32 v33, v114, v33
	s_delay_alu instid0(VALU_DEP_3) | instskip(SKIP_1) | instid1(VALU_DEP_4)
	v_add_f16_e32 v109, v110, v109
	v_fma_f16 v110, 0x3b76, v19, v133
	v_add_f16_e32 v17, v17, v18
	v_fma_f16 v18, 0xbacd, v19, v173
	v_fmamk_f16 v19, v19, 0x39e9, v99
	s_delay_alu instid0(VALU_DEP_4) | instskip(SKIP_1) | instid1(VALU_DEP_4)
	v_add_f16_e32 v109, v110, v109
	v_fma_f16 v110, 0x3722, v20, v136
	v_add_f16_e32 v18, v18, v33
	v_add_f16_e32 v33, v98, v36
	;; [unrolled: 1-line block ×3, first 2 shown]
	v_fma_f16 v19, 0x2de8, v20, v174
	v_add_f16_e32 v109, v110, v109
	v_fma_f16 v110, 0xbacd, v21, v139
	v_fmamk_f16 v20, v20, 0xb8d2, v101
	s_delay_alu instid0(VALU_DEP_4) | instskip(SKIP_1) | instid1(VALU_DEP_4)
	v_add_f16_e32 v18, v19, v18
	v_add_f16_e32 v19, v100, v33
	;; [unrolled: 1-line block ×3, first 2 shown]
	v_fma_f16 v110, 0xbacd, v23, v153
	v_add_f16_e32 v17, v20, v17
	v_fma_f16 v20, 0x39e9, v21, v175
	v_fmamk_f16 v21, v21, 0x3722, v103
	v_add_f16_e32 v109, v112, v109
	v_add_f16_e32 v108, v110, v108
	v_add_f16_e64 v110, v96, v178
	v_add_f16_e64 v112, v96, v128
	v_add_f16_e64 v96, v96, v162
	v_add_f16_e32 v18, v20, v18
	v_add_f16_e32 v19, v102, v19
	v_add_f16_e64 v110, v180, v110
	v_add_f16_e64 v112, v143, v112
	v_add_f16_e64 v96, v177, v96
	;; [unrolled: 5-line block ×3, first 2 shown]
	v_fma_f16 v21, 0xbbdd, v22, v176
	v_add_f16_e32 v19, v104, v19
	v_add_f16_e64 v110, v182, v110
	v_add_f16_e64 v112, v167, v112
	;; [unrolled: 1-line block ×3, first 2 shown]
	v_add_f16_e32 v18, v21, v18
	v_fma_f16 v29, 0xb461, v23, v161
	v_add_f16_e64 v110, v183, v110
	v_add_f16_e64 v112, v168, v112
	;; [unrolled: 1-line block ×3, first 2 shown]
	v_add_f16_e32 v19, v106, v19
	s_delay_alu instid0(VALU_DEP_4) | instskip(NEXT) | instid1(VALU_DEP_4)
	v_add_f16_e64 v110, v185, v110
	v_add_f16_e64 v112, v169, v112
	s_delay_alu instid0(VALU_DEP_4)
	v_add_f16_e64 v27, v197, v28
	v_fmamk_f16 v28, v22, 0x39e9, v34
	v_fmamk_f16 v22, v22, 0xb461, v105
	v_add_f16_e64 v110, v187, v110
	v_add_f16_e64 v112, v170, v112
	;; [unrolled: 1-line block ×3, first 2 shown]
	v_add_f16_e32 v20, v28, v20
	v_add_f16_e32 v17, v22, v17
	v_fmamk_f16 v28, v23, 0x2de8, v39
	v_fma_f16 v22, 0x39e9, v23, v165
	v_fma_f16 v27, 0xb8d2, v23, v192
	;; [unrolled: 1-line block ×3, first 2 shown]
	v_add_f16_e64 v21, v199, v21
	v_add_f16_e32 v17, v28, v17
	v_add_f16_e32 v20, v29, v20
	v_add_f16_e64 v110, v191, v110
	v_add_f16_e64 v112, v171, v112
	v_add_f16_e32 v18, v23, v18
	v_add_f16_e32 v23, v27, v113
	;; [unrolled: 1-line block ×3, first 2 shown]
	v_pack_b32_f16 v17, v17, v21
	v_pack_b32_f16 v19, v20, v19
	;; [unrolled: 1-line block ×7, first 2 shown]
	v_perm_b32 v27, v95, v42, 0x5040100
	v_add_nc_u32_e32 v28, 0x200, v111
	ds_store_2addr_b32 v111, v32, v16 offset0:112 offset1:128
	ds_store_2addr_b32 v111, v17, v19 offset0:144 offset1:160
	;; [unrolled: 1-line block ×5, first 2 shown]
.LBB0_5:
	s_wait_alu 0xfffe
	s_or_b32 exec_lo, exec_lo, s2
	s_add_nc_u64 s[2:3], s[8:9], 0x440
	global_wb scope:SCOPE_SE
	s_wait_dscnt 0x0
	s_barrier_signal -1
	s_barrier_wait -1
	global_inv scope:SCOPE_SE
	s_clause 0xf
	global_load_b32 v18, v[25:26], off offset:1088
	global_load_b32 v19, v78, s[2:3] offset:68
	global_load_b32 v31, v78, s[2:3] offset:136
	global_load_b32 v32, v78, s[2:3] offset:204
	global_load_b32 v33, v78, s[2:3] offset:272
	global_load_b32 v34, v78, s[2:3] offset:340
	global_load_b32 v35, v78, s[2:3] offset:408
	global_load_b32 v36, v78, s[2:3] offset:476
	global_load_b32 v37, v78, s[2:3] offset:544
	global_load_b32 v38, v78, s[2:3] offset:612
	global_load_b32 v39, v78, s[2:3] offset:680
	global_load_b32 v40, v78, s[2:3] offset:748
	global_load_b32 v96, v78, s[2:3] offset:816
	global_load_b32 v97, v78, s[2:3] offset:884
	global_load_b32 v98, v78, s[2:3] offset:952
	global_load_b32 v78, v78, s[2:3] offset:1020
	ds_load_2addr_b32 v[16:17], v48 offset1:17
	s_wait_dscnt 0x0
	v_lshrrev_b32_e32 v20, 16, v16
	v_lshrrev_b32_e32 v22, 16, v17
	s_wait_loadcnt 0xf
	v_lshrrev_b32_e32 v21, 16, v18
	s_wait_loadcnt 0xe
	;; [unrolled: 2-line block ×5, first 2 shown]
	v_lshrrev_b32_e32 v101, 16, v33
	v_mul_f16_e32 v25, v20, v21
	v_mul_f16_e32 v21, v16, v21
	;; [unrolled: 1-line block ×4, first 2 shown]
	s_wait_loadcnt 0xa
	v_lshrrev_b32_e32 v102, 16, v34
	v_fma_f16 v16, v16, v18, -v25
	v_fmac_f16_e32 v21, v20, v18
	v_fma_f16 v17, v17, v19, -v26
	v_fmac_f16_e32 v23, v22, v19
	s_wait_loadcnt 0x9
	v_lshrrev_b32_e32 v103, 16, v35
	s_wait_loadcnt 0x8
	v_lshrrev_b32_e32 v104, 16, v36
	v_pack_b32_f16 v16, v16, v21
	s_wait_loadcnt 0x7
	v_lshrrev_b32_e32 v105, 16, v37
	v_pack_b32_f16 v17, v17, v23
	s_wait_loadcnt 0x6
	v_lshrrev_b32_e32 v106, 16, v38
	s_wait_loadcnt 0x5
	v_lshrrev_b32_e32 v107, 16, v39
	;; [unrolled: 2-line block ×4, first 2 shown]
	ds_store_2addr_b32 v48, v16, v17 offset1:17
	ds_load_2addr_b32 v[16:17], v48 offset0:34 offset1:51
	ds_load_2addr_b32 v[18:19], v48 offset0:68 offset1:85
	;; [unrolled: 1-line block ×7, first 2 shown]
	s_wait_loadcnt 0x2
	v_lshrrev_b32_e32 v110, 16, v97
	s_wait_loadcnt 0x1
	v_lshrrev_b32_e32 v111, 16, v98
	;; [unrolled: 2-line block ×3, first 2 shown]
	s_wait_dscnt 0x6
	v_lshrrev_b32_e32 v113, 16, v16
	v_lshrrev_b32_e32 v115, 16, v17
	s_wait_dscnt 0x5
	v_lshrrev_b32_e32 v117, 16, v18
	v_lshrrev_b32_e32 v119, 16, v19
	;; [unrolled: 3-line block ×7, first 2 shown]
	v_mul_f16_e32 v114, v16, v99
	v_mul_f16_e32 v116, v17, v100
	;; [unrolled: 1-line block ×13, first 2 shown]
	v_mul_f16_e64 v128, v23, v106
	v_mul_f16_e32 v105, v125, v105
	v_mul_f16_e32 v106, v127, v106
	v_mul_f16_e64 v130, v25, v107
	v_mul_f16_e64 v132, v26, v108
	;; [unrolled: 1-line block ×12, first 2 shown]
	v_fmac_f16_e32 v114, v113, v31
	v_fmac_f16_e32 v116, v115, v32
	v_fma_f16 v16, v16, v31, -v99
	v_fma_f16 v17, v17, v32, -v100
	v_fmac_f16_e32 v118, v117, v33
	v_fmac_f16_e32 v120, v119, v34
	v_fma_f16 v18, v18, v33, -v101
	v_fma_f16 v19, v19, v34, -v102
	;; [unrolled: 4-line block ×3, first 2 shown]
	v_fmac_f16_e32 v126, v125, v37
	v_fmac_f16_e64 v128, v127, v38
	v_fma_f16 v22, v22, v37, -v105
	v_fma_f16 v23, v23, v38, -v106
	v_fmac_f16_e64 v130, v129, v39
	v_fmac_f16_e64 v132, v131, v40
	;; [unrolled: 1-line block ×6, first 2 shown]
	v_fma_f16 v25, v25, v39, -v107
	v_fma_f16 v26, v26, v40, -v108
	;; [unrolled: 1-line block ×6, first 2 shown]
	v_pack_b32_f16 v16, v16, v114
	v_pack_b32_f16 v17, v17, v116
	v_pack_b32_f16 v18, v18, v118
	v_pack_b32_f16 v19, v19, v120
	v_pack_b32_f16 v20, v20, v122
	v_pack_b32_f16 v21, v21, v124
	v_pack_b32_f16 v22, v22, v126
	v_pack_b32_f16 v23, v23, v128
	v_pack_b32_f16 v25, v25, v130
	v_pack_b32_f16 v26, v26, v132
	v_pack_b32_f16 v27, v27, v134
	v_pack_b32_f16 v28, v28, v136
	v_pack_b32_f16 v29, v29, v138
	v_pack_b32_f16 v30, v30, v140
	ds_store_2addr_b32 v48, v16, v17 offset0:34 offset1:51
	ds_store_2addr_b32 v48, v18, v19 offset0:68 offset1:85
	;; [unrolled: 1-line block ×7, first 2 shown]
	global_wb scope:SCOPE_SE
	s_wait_dscnt 0x0
	s_barrier_signal -1
	s_barrier_wait -1
	global_inv scope:SCOPE_SE
	ds_load_2addr_b32 v[16:17], v48 offset1:17
	ds_load_2addr_b32 v[18:19], v48 offset0:34 offset1:51
	ds_load_2addr_b32 v[20:21], v48 offset0:68 offset1:85
	;; [unrolled: 1-line block ×7, first 2 shown]
	global_wb scope:SCOPE_SE
	s_wait_dscnt 0x0
	s_barrier_signal -1
	s_barrier_wait -1
	global_inv scope:SCOPE_SE
	v_pk_add_f16 v25, v16, v25 neg_lo:[0,1] neg_hi:[0,1]
	v_pk_add_f16 v27, v20, v27 neg_lo:[0,1] neg_hi:[0,1]
	;; [unrolled: 1-line block ×8, first 2 shown]
	v_lshrrev_b32_e32 v33, 16, v27
	v_lshrrev_b32_e32 v34, 16, v25
	;; [unrolled: 1-line block ×8, first 2 shown]
	v_pk_fma_f16 v16, v16, 2.0, v25 op_sel_hi:[1,0,1] neg_lo:[0,0,1] neg_hi:[0,0,1]
	v_pk_fma_f16 v20, v20, 2.0, v27 op_sel_hi:[1,0,1] neg_lo:[0,0,1] neg_hi:[0,0,1]
	;; [unrolled: 1-line block ×8, first 2 shown]
	v_add_f16_e32 v33, v25, v33
	v_sub_f16_e32 v27, v34, v27
	v_add_f16_e32 v35, v29, v35
	v_sub_f16_e32 v31, v36, v31
	;; [unrolled: 2-line block ×4, first 2 shown]
	v_pk_add_f16 v20, v16, v20 neg_lo:[0,1] neg_hi:[0,1]
	v_pk_add_f16 v22, v18, v22 neg_lo:[0,1] neg_hi:[0,1]
	;; [unrolled: 1-line block ×4, first 2 shown]
	v_fma_f16 v25, v25, 2.0, -v33
	v_fma_f16 v34, v34, 2.0, -v27
	;; [unrolled: 1-line block ×8, first 2 shown]
	v_lshrrev_b32_e32 v78, 16, v22
	v_lshrrev_b32_e32 v96, 16, v20
	v_fmamk_f16 v101, v35, 0x39a8, v33
	v_fmamk_f16 v106, v31, 0x39a8, v27
	v_lshrrev_b32_e32 v97, 16, v23
	v_lshrrev_b32_e32 v98, 16, v21
	v_fmamk_f16 v102, v39, 0x39a8, v37
	v_fmamk_f16 v105, v32, 0x39a8, v28
	;; [unrolled: 1-line block ×6, first 2 shown]
	v_pk_fma_f16 v16, v16, 2.0, v20 op_sel_hi:[1,0,1] neg_lo:[0,0,1] neg_hi:[0,0,1]
	v_pk_fma_f16 v18, v18, 2.0, v22 op_sel_hi:[1,0,1] neg_lo:[0,0,1] neg_hi:[0,0,1]
	;; [unrolled: 1-line block ×4, first 2 shown]
	v_add_f16_e32 v78, v20, v78
	v_sub_f16_e32 v22, v96, v22
	v_fmac_f16_e32 v101, 0x39a8, v31
	v_fmac_f16_e32 v106, 0xb9a8, v35
	v_add_f16_e32 v31, v21, v97
	v_sub_f16_e32 v23, v98, v23
	v_fmac_f16_e32 v102, 0x39a8, v32
	v_fmac_f16_e32 v105, 0xb9a8, v39
	;; [unrolled: 1-line block ×6, first 2 shown]
	v_pk_add_f16 v18, v16, v18 neg_lo:[0,1] neg_hi:[0,1]
	v_pk_add_f16 v19, v17, v19 neg_lo:[0,1] neg_hi:[0,1]
	v_fma_f16 v32, v20, 2.0, -v78
	v_fma_f16 v39, v96, 2.0, -v22
	;; [unrolled: 1-line block ×12, first 2 shown]
	v_pk_fma_f16 v16, v16, 2.0, v18 op_sel_hi:[1,0,1] neg_lo:[0,0,1] neg_hi:[0,0,1]
	v_pk_fma_f16 v17, v17, 2.0, v19 op_sel_hi:[1,0,1] neg_lo:[0,0,1] neg_hi:[0,0,1]
	v_lshrrev_b32_e32 v40, 16, v18
	v_fmamk_f16 v27, v21, 0xb9a8, v32
	v_fmamk_f16 v96, v29, 0xb9a8, v39
	;; [unrolled: 1-line block ×7, first 2 shown]
	v_lshrrev_b32_e32 v33, 16, v19
	v_fmamk_f16 v35, v31, 0x39a8, v78
	v_fmamk_f16 v100, v23, 0x39a8, v22
	;; [unrolled: 1-line block ×5, first 2 shown]
	v_pk_add_f16 v20, v16, v17 neg_lo:[0,1] neg_hi:[0,1]
	v_sub_f16_e32 v103, v40, v19
	v_fmac_f16_e32 v27, 0x39a8, v29
	v_fmac_f16_e32 v96, 0xb9a8, v21
	;; [unrolled: 1-line block ×7, first 2 shown]
	v_add_f16_e32 v33, v18, v33
	v_fmac_f16_e32 v35, 0x39a8, v23
	v_fmac_f16_e32 v100, 0xb9a8, v31
	v_fmac_f16_e32 v36, 0x361f, v105
	v_fmac_f16_e32 v98, 0xb61f, v102
	v_fmac_f16_e32 v104, 0xbb64, v107
	v_pk_fma_f16 v16, v16, 2.0, v20 op_sel_hi:[1,0,1] neg_lo:[0,0,1] neg_hi:[0,0,1]
	v_fma_f16 v105, v40, 2.0, -v103
	v_fma_f16 v37, v32, 2.0, -v27
	;; [unrolled: 1-line block ×14, first 2 shown]
	v_pack_b32_f16 v23, v28, v99
	v_pack_b32_f16 v22, v27, v96
	;; [unrolled: 1-line block ×3, first 2 shown]
	v_lshrrev_b32_e32 v78, 16, v16
	v_pack_b32_f16 v113, v36, v98
	v_pack_b32_f16 v112, v35, v100
	;; [unrolled: 1-line block ×11, first 2 shown]
	ds_store_b128 v79, v[20:23] offset:32
	ds_store_b128 v79, v[110:113] offset:48
	ds_store_b128 v79, v[16:19]
	ds_store_b128 v79, v[114:117] offset:16
	global_wb scope:SCOPE_SE
	s_wait_dscnt 0x0
	s_barrier_signal -1
	s_barrier_wait -1
	global_inv scope:SCOPE_SE
	s_and_saveexec_b32 s2, vcc_lo
	s_cbranch_execz .LBB0_7
; %bb.6:
	ds_load_2addr_b32 v[39:40], v48 offset1:16
	ds_load_2addr_b32 v[37:38], v48 offset0:32 offset1:48
	ds_load_2addr_b32 v[31:32], v48 offset0:64 offset1:80
	;; [unrolled: 1-line block ×7, first 2 shown]
	ds_load_b32 v42, v48 offset:1024
	s_wait_dscnt 0x8
	v_lshrrev_b32_e32 v78, 16, v39
	v_lshrrev_b32_e32 v109, 16, v40
	s_wait_dscnt 0x7
	v_lshrrev_b32_e32 v108, 16, v37
	v_lshrrev_b32_e32 v107, 16, v38
	s_wait_dscnt 0x6
	v_lshrrev_b32_e32 v105, 16, v31
	v_lshrrev_b32_e32 v106, 16, v32
	s_wait_dscnt 0x5
	v_lshrrev_b32_e32 v102, 16, v29
	v_lshrrev_b32_e32 v101, 16, v30
	s_wait_dscnt 0x4
	v_lshrrev_b32_e32 v97, 16, v26
	s_wait_dscnt 0x3
	v_lshrrev_b32_e32 v96, 16, v27
	v_lshrrev_b32_e32 v99, 16, v28
	s_wait_dscnt 0x2
	v_lshrrev_b32_e32 v103, 16, v33
	;; [unrolled: 3-line block ×4, first 2 shown]
	v_mov_b32_e32 v16, v39
	v_mov_b32_e32 v20, v25
.LBB0_7:
	s_wait_alu 0xfffe
	s_or_b32 exec_lo, exec_lo, s2
	s_and_saveexec_b32 s2, vcc_lo
	s_cbranch_execz .LBB0_9
; %bb.8:
	v_mul_f16_e32 v39, v93, v109
	v_mul_f16_e32 v17, v94, v95
	;; [unrolled: 1-line block ×5, first 2 shown]
	v_fmac_f16_e32 v39, v8, v40
	v_fmac_f16_e32 v17, v15, v42
	v_mul_f16_e32 v18, v92, v98
	v_fma_f16 v15, v15, v95, -v19
	v_fma_f16 v40, v8, v109, -v21
	v_mul_f16_e32 v8, v92, v36
	v_sub_f16_e32 v21, v39, v17
	v_fmac_f16_e32 v25, v9, v37
	v_fmac_f16_e32 v18, v14, v36
	v_mul_f16_e32 v23, v91, v37
	v_add_f16_e32 v92, v15, v40
	v_mul_f16_e32 v94, 0xb964, v21
	v_mul_f16_e32 v36, v89, v107
	;; [unrolled: 1-line block ×3, first 2 shown]
	v_sub_f16_e32 v22, v25, v18
	v_fma_f16 v8, v14, v98, -v8
	v_fma_f16 v37, v9, v108, -v23
	v_mul_f16_e32 v23, v89, v38
	v_fmamk_f16 v42, v92, 0x39e9, v94
	v_fmac_f16_e32 v36, v10, v38
	v_fmac_f16_e32 v19, v13, v35
	v_mul_f16_e32 v9, v90, v35
	v_mul_f16_e32 v98, 0xbbf7, v22
	v_add_f16_e32 v89, v8, v37
	v_fma_f16 v35, v10, v107, -v23
	v_mul_f16_e32 v38, v87, v105
	v_mul_f16_e32 v10, v88, v104
	v_sub_f16_e32 v14, v36, v19
	v_fma_f16 v9, v13, v100, -v9
	v_add_f16_e32 v13, v78, v42
	v_fmamk_f16 v23, v89, 0x2de8, v98
	v_fmac_f16_e32 v38, v11, v31
	v_fmac_f16_e32 v10, v12, v34
	v_mul_f16_e32 v34, v88, v34
	v_mul_f16_e32 v87, v87, v31
	;; [unrolled: 1-line block ×3, first 2 shown]
	v_add_f16_e32 v90, v9, v35
	v_add_f16_e32 v42, v23, v13
	v_mul_f16_e32 v31, v85, v106
	v_mul_f16_e32 v13, v86, v103
	v_sub_f16_e32 v23, v38, v10
	v_fma_f16 v12, v12, v104, -v34
	v_fma_f16 v34, v11, v105, -v87
	v_fmamk_f16 v79, v90, 0xb8d2, v100
	v_fmac_f16_e32 v31, v0, v32
	v_fmac_f16_e32 v13, v7, v33
	v_mul_f16_e32 v33, v86, v33
	v_mul_f16_e32 v32, v85, v32
	;; [unrolled: 1-line block ×3, first 2 shown]
	v_add_f16_e32 v88, v12, v34
	v_add_f16_e32 v42, v79, v42
	v_fma_f16 v7, v7, v103, -v33
	v_fma_f16 v32, v0, v106, -v32
	v_mul_f16_e32 v33, v83, v102
	v_fmamk_f16 v79, v88, 0xbbdd, v110
	v_mul_f16_e32 v0, v84, v99
	v_sub_f16_e32 v11, v31, v13
	v_mul_f16_e32 v83, v83, v29
	v_fmac_f16_e32 v33, v1, v29
	v_add_f16_e32 v85, v79, v42
	v_fmac_f16_e32 v0, v6, v28
	v_mul_f16_e32 v79, v84, v28
	v_mul_f16_e32 v42, v81, v101
	;; [unrolled: 1-line block ×4, first 2 shown]
	v_add_f16_e32 v91, v7, v32
	v_sub_f16_e32 v28, v33, v0
	v_fma_f16 v6, v6, v99, -v79
	v_fma_f16 v79, v1, v102, -v83
	v_fmac_f16_e32 v42, v2, v30
	v_fmac_f16_e32 v29, v5, v27
	v_mul_f16_e32 v27, v82, v27
	v_mul_f16_e32 v30, v81, v30
	v_fmamk_f16 v86, v91, 0xbacd, v108
	v_mul_f16_e32 v111, 0x3bb2, v28
	v_add_f16_e32 v99, v6, v79
	v_sub_f16_e32 v1, v42, v29
	v_fma_f16 v5, v5, v96, -v27
	v_fma_f16 v82, v2, v101, -v30
	v_add_f16_e32 v2, v86, v85
	v_fmamk_f16 v27, v99, 0xb461, v111
	v_mul_f16_e32 v109, 0x3b29, v1
	v_sub_f16_e32 v105, v40, v15
	v_add_f16_e32 v85, v5, v82
	v_sub_f16_e32 v107, v37, v8
	v_add_f16_e32 v2, v27, v2
	v_add_f16_e32 v27, v17, v39
	v_mul_f16_e32 v119, 0xb964, v105
	v_fmamk_f16 v30, v85, 0x3722, v109
	v_mul_f16_e32 v113, 0xbbf7, v107
	v_sub_f16_e32 v95, v35, v9
	v_lshrrev_b32_e32 v86, 16, v20
	v_mul_f16_e32 v83, v80, v97
	v_add_f16_e32 v103, v30, v2
	v_fma_f16 v2, v27, 0x39e9, -v119
	v_add_f16_e32 v30, v18, v25
	v_add_f16_e32 v81, v19, v36
	v_mul_f16_e32 v114, 0xba62, v95
	v_sub_f16_e32 v96, v34, v12
	v_add_f16_e32 v87, v16, v2
	v_fma_f16 v93, v30, 0x2de8, -v113
	v_mul_f16_e32 v84, v41, v86
	v_fmac_f16_e32 v83, v4, v26
	v_mul_f16_e32 v80, v80, v26
	v_fma_f16 v101, v81, 0xb8d2, -v114
	v_add_f16_e32 v93, v93, v87
	v_add_f16_e32 v26, v10, v38
	v_mul_f16_e32 v116, 0xb1e1, v96
	v_fmac_f16_e32 v84, v3, v20
	v_fma_f16 v87, v4, v97, -v80
	v_sub_f16_e32 v97, v32, v7
	v_mul_f16_e32 v20, v41, v20
	v_add_f16_e32 v41, v101, v93
	v_fma_f16 v80, v26, 0xbbdd, -v116
	v_mul_f16_e64 v134, 0xbb29, v21
	v_sub_f16_e32 v2, v84, v83
	v_add_f16_e32 v4, v13, v31
	v_mul_f16_e32 v118, 0x3836, v97
	v_fma_f16 v93, v3, v86, -v20
	v_add_f16_e32 v3, v80, v41
	v_sub_f16_e32 v101, v79, v6
	v_fma_f16 v80, 0x3722, v92, v134
	v_mul_f16_e64 v135, 0xba62, v22
	v_mul_f16_e32 v115, 0x35c8, v2
	v_fma_f16 v41, v4, 0xbacd, -v118
	v_add_f16_e32 v102, v87, v93
	v_add_f16_e32 v20, v0, v33
	v_mul_f16_e32 v121, 0x3bb2, v101
	v_sub_f16_e32 v104, v82, v5
	v_add_f16_e32 v80, v78, v80
	v_fma_f16 v106, 0xb8d2, v89, v135
	v_mul_f16_e64 v129, 0x31e1, v14
	v_add_f16_e32 v3, v41, v3
	v_fma_f16 v86, v20, 0xb461, -v121
	v_add_f16_e32 v41, v29, v42
	v_mul_f16_e32 v120, 0x3b29, v104
	v_fmamk_f16 v112, v102, 0x3b76, v115
	v_add_f16_e32 v80, v106, v80
	v_fma_f16 v106, 0xbbdd, v90, v129
	v_mul_f16_e64 v130, 0x3bb2, v23
	v_add_f16_e32 v86, v86, v3
	v_fma_f16 v117, v41, 0x3722, -v120
	v_add_f16_e32 v3, v112, v103
	v_add_f16_e32 v103, v106, v80
	v_fma_f16 v112, 0xb461, v88, v130
	v_mul_f16_e64 v128, 0x3964, v11
	v_mul_f16_e64 v140, 0xbb29, v105
	v_add_f16_e32 v86, v117, v86
	v_mul_f16_e32 v126, 0xb5c8, v28
	v_add_f16_e32 v103, v112, v103
	v_fma_f16 v112, 0x39e9, v91, v128
	v_fma_f16 v117, v27, 0x3722, -v140
	v_mul_f16_e64 v141, 0xba62, v107
	v_sub_f16_e32 v106, v93, v87
	v_mul_f16_e32 v127, 0xbbf7, v1
	v_add_f16_e32 v103, v112, v103
	v_fmamk_f16 v112, v99, 0x3b76, v126
	v_add_f16_e32 v117, v16, v117
	v_fma_f16 v122, v30, 0xb8d2, -v141
	v_mul_f16_e64 v131, 0x31e1, v95
	v_add_f16_e32 v80, v83, v84
	v_mul_f16_e32 v123, 0x35c8, v106
	v_add_f16_e32 v103, v112, v103
	v_fmamk_f16 v112, v85, 0x2de8, v127
	v_add_f16_e32 v117, v122, v117
	v_fma_f16 v122, v81, 0xbbdd, -v131
	v_mul_f16_e64 v132, 0x3bb2, v96
	v_mul_f16_e64 v151, 0xbbf7, v21
	v_fma_f16 v124, v80, 0x3b76, -v123
	v_add_f16_e32 v103, v112, v103
	v_add_f16_e32 v112, v122, v117
	v_fma_f16 v117, v26, 0xb461, -v132
	v_mul_f16_e64 v139, 0x3964, v97
	v_fma_f16 v122, 0x2de8, v92, v151
	v_mul_f16_e64 v152, 0xb1e1, v22
	v_add_f16_e32 v86, v124, v86
	v_add_f16_e32 v112, v117, v112
	v_fma_f16 v117, v4, 0x39e9, -v139
	v_mul_f16_e64 v142, 0xb5c8, v101
	v_add_f16_e32 v122, v78, v122
	v_fma_f16 v124, 0xbbdd, v89, v152
	v_mul_f16_e64 v155, 0x3bb2, v14
	v_add_f16_e32 v112, v117, v112
	v_fma_f16 v117, v20, 0x3b76, -v142
	v_mul_f16_e64 v136, 0xbbf7, v104
	v_add_f16_e32 v122, v124, v122
	v_fma_f16 v124, 0xb461, v90, v155
	v_mul_f16_e64 v146, 0x35c8, v23
	v_mul_f16_e64 v138, 0xb836, v2
	v_add_f16_e32 v112, v117, v112
	v_fma_f16 v117, v41, 0x2de8, -v136
	v_add_f16_e32 v122, v124, v122
	v_fma_f16 v124, 0x3b76, v88, v146
	v_mul_f16_e64 v147, 0xbb29, v11
	v_mul_f16_e64 v157, 0xbbf7, v105
	v_fma_f16 v125, 0xbacd, v102, v138
	v_add_f16_e32 v112, v117, v112
	v_add_f16_e32 v117, v124, v122
	v_fma_f16 v122, 0x3722, v91, v147
	v_mul_f16_e64 v153, 0xb836, v28
	v_fma_f16 v124, v27, 0x2de8, -v157
	v_mul_f16_e64 v158, 0xb1e1, v107
	v_add_f16_e32 v103, v125, v103
	v_add_f16_e32 v117, v122, v117
	v_fma_f16 v122, 0xbacd, v99, v153
	v_mul_f16_e64 v154, 0x3a62, v1
	v_add_f16_e32 v124, v16, v124
	v_fma_f16 v125, v30, 0xbbdd, -v158
	v_mul_f16_e64 v159, 0x3bb2, v95
	v_mul_f16_e64 v137, 0xb836, v106
	v_add_f16_e32 v117, v122, v117
	v_fma_f16 v122, 0xb8d2, v85, v154
	v_add_f16_e32 v124, v125, v124
	v_fma_f16 v125, v81, 0xb461, -v159
	v_mul_f16_e64 v148, 0x35c8, v96
	v_mul_f16_e64 v174, 0xbbb2, v21
	v_fma_f16 v133, v80, 0xbacd, -v137
	v_add_f16_e32 v117, v122, v117
	v_add_f16_e32 v122, v125, v124
	v_fma_f16 v124, v26, 0x3b76, -v148
	v_mul_f16_e64 v160, 0xbb29, v97
	v_fma_f16 v125, 0xb461, v92, v174
	v_mul_f16_e64 v175, 0x3836, v22
	v_add_f16_e64 v112, v133, v112
	v_add_f16_e32 v122, v124, v122
	v_fma_f16 v124, v4, 0x3722, -v160
	v_mul_f16_e64 v149, 0xb836, v101
	v_add_f16_e32 v125, v78, v125
	v_fma_f16 v133, 0xbacd, v89, v175
	v_mul_f16_e64 v176, 0x3964, v14
	v_add_f16_e32 v122, v124, v122
	v_fma_f16 v124, v20, 0xbacd, -v149
	v_mul_f16_e64 v150, 0x3a62, v104
	v_add_f16_e64 v125, v133, v125
	v_fma_f16 v133, 0x39e9, v90, v176
	v_mul_f16_e64 v177, 0xbb29, v23
	v_mul_f16_e64 v161, 0x3964, v2
	v_add_f16_e32 v122, v124, v122
	v_fma_f16 v124, v41, 0xb8d2, -v150
	v_add_f16_e64 v125, v133, v125
	v_fma_f16 v133, 0x3722, v88, v177
	v_mul_f16_e64 v178, 0xb1e1, v11
	v_mul_f16_e64 v179, 0xbbb2, v105
	v_fma_f16 v143, 0x39e9, v102, v161
	v_add_f16_e32 v122, v124, v122
	v_add_f16_e64 v124, v133, v125
	v_fma_f16 v125, 0xbbdd, v91, v178
	v_mul_f16_e64 v180, 0x3bf7, v28
	v_fma_f16 v133, v27, 0xb461, -v179
	v_mul_f16_e64 v168, 0x3836, v107
	v_add_f16_e64 v117, v143, v117
	v_add_f16_e32 v124, v125, v124
	v_fma_f16 v125, 0x2de8, v99, v180
	v_mul_f16_e64 v166, 0xb5c8, v1
	v_add_f16_e64 v133, v16, v133
	v_fma_f16 v143, v30, 0xbacd, -v168
	v_mul_f16_e64 v169, 0x3964, v95
	v_mul_f16_e64 v162, 0x3964, v106
	v_add_f16_e32 v124, v125, v124
	v_fma_f16 v125, 0x3b76, v85, v166
	v_add_f16_e64 v133, v143, v133
	v_fma_f16 v143, v81, 0x39e9, -v169
	v_mul_f16_e64 v170, 0xbb29, v96
	v_mul_f16_e64 v167, 0xba62, v21
	v_fma_f16 v144, v80, 0x39e9, -v162
	v_add_f16_e32 v124, v125, v124
	v_add_f16_e64 v125, v143, v133
	v_fma_f16 v133, v26, 0x3722, -v170
	v_mul_f16_e64 v171, 0xb1e1, v97
	v_fma_f16 v143, 0xb8d2, v92, v167
	v_mul_f16_e64 v182, 0x3bb2, v22
	v_add_f16_e64 v122, v144, v122
	v_add_f16_e64 v125, v133, v125
	v_fma_f16 v133, v4, 0xbbdd, -v171
	v_mul_f16_e64 v172, 0x3bf7, v101
	v_add_f16_e64 v143, v78, v143
	v_fma_f16 v144, 0xb461, v89, v182
	v_mul_f16_e64 v183, 0xb5c8, v14
	v_add_f16_e64 v125, v133, v125
	v_fma_f16 v133, v20, 0x2de8, -v172
	v_mul_f16_e64 v173, 0xb5c8, v104
	v_add_f16_e64 v143, v144, v143
	v_fma_f16 v144, 0x3b76, v90, v183
	v_mul_f16_e64 v184, 0xb836, v23
	v_mul_f16_e64 v181, 0xba62, v2
	v_add_f16_e64 v125, v133, v125
	v_fma_f16 v133, v41, 0x3b76, -v173
	v_add_f16_e64 v143, v144, v143
	v_fma_f16 v144, 0xbacd, v88, v184
	v_mul_f16_e64 v185, 0x3bf7, v11
	v_mul_f16_e64 v186, 0xba62, v105
	v_fma_f16 v145, 0xb8d2, v102, v181
	v_add_f16_e64 v125, v133, v125
	v_add_f16_e64 v133, v144, v143
	v_fma_f16 v143, 0x2de8, v91, v185
	v_mul_f16_e64 v187, 0xb964, v28
	v_fma_f16 v144, v27, 0xb8d2, -v186
	v_mul_f16_e64 v189, 0x3bb2, v107
	v_add_f16_e64 v124, v145, v124
	v_add_f16_e64 v133, v143, v133
	v_fma_f16 v143, 0x39e9, v99, v187
	v_mul_f16_e64 v190, 0xb1e1, v1
	v_add_f16_e64 v144, v16, v144
	v_fma_f16 v145, v30, 0xb461, -v189
	v_mul_f16_e64 v191, 0xb5c8, v95
	v_mul_f16_e64 v188, 0xba62, v106
	v_add_f16_e64 v133, v143, v133
	v_fma_f16 v143, 0xbbdd, v85, v190
	v_add_f16_e64 v144, v145, v144
	v_fma_f16 v145, v81, 0x3b76, -v191
	v_mul_f16_e64 v192, 0xb836, v96
	v_mul_f16_e64 v164, 0xb836, v21
	v_fma_f16 v156, v80, 0xb8d2, -v188
	v_add_f16_e64 v133, v143, v133
	v_add_f16_e64 v143, v145, v144
	v_fma_f16 v144, v26, 0xbacd, -v192
	v_mul_f16_e64 v193, 0x3bf7, v97
	v_fma_f16 v145, 0xbacd, v92, v164
	v_mul_f16_e64 v165, 0x3b29, v22
	v_add_f16_e64 v125, v156, v125
	v_add_f16_e64 v143, v144, v143
	v_fma_f16 v144, v4, 0x2de8, -v193
	v_mul_f16_e64 v195, 0xb964, v101
	v_add_f16_e64 v145, v78, v145
	v_fma_f16 v156, 0x3722, v89, v165
	v_mul_f16_e64 v196, 0xbbf7, v14
	v_add_f16_e64 v143, v144, v143
	v_fma_f16 v144, v20, 0x39e9, -v195
	v_mul_f16_e64 v197, 0xb1e1, v104
	v_add_f16_e64 v145, v156, v145
	v_fma_f16 v156, 0x2de8, v90, v196
	v_mul_f16_e64 v198, 0x3a62, v23
	v_mul_f16_e64 v194, 0x3b29, v2
	v_add_f16_e64 v143, v144, v143
	v_fma_f16 v144, v41, 0xbbdd, -v197
	v_add_f16_e64 v145, v156, v145
	v_fma_f16 v156, 0xb8d2, v88, v198
	v_mul_f16_e64 v199, 0xb5c8, v11
	v_mul_f16_e64 v200, 0xb836, v105
	v_fma_f16 v163, 0x3722, v102, v194
	v_add_f16_e64 v143, v144, v143
	v_add_f16_e64 v144, v156, v145
	v_fma_f16 v145, 0x3b76, v91, v199
	v_mul_f16_e64 v201, 0xb1e1, v28
	v_mul_f16_e64 v202, 0x3b29, v106
	v_fma_f16 v156, v27, 0xbacd, -v200
	v_mul_f16_e64 v203, 0x3b29, v107
	v_add_f16_e64 v133, v163, v133
	v_add_f16_e64 v144, v145, v144
	v_fma_f16 v145, 0xbbdd, v99, v201
	v_mul_f16_e64 v204, 0x3964, v1
	v_add_f16_e64 v156, v16, v156
	v_fma_f16 v163, v30, 0x3722, -v203
	v_mul_f16_e64 v205, 0xbbf7, v95
	v_fma_f16 v206, v80, 0x3722, -v202
	v_add_f16_e64 v144, v145, v144
	v_fma_f16 v145, 0x39e9, v85, v204
	v_add_f16_e64 v156, v163, v156
	v_fma_f16 v163, v81, 0x2de8, -v205
	v_mul_f16_e64 v207, 0x3a62, v96
	v_add_f16_e64 v143, v206, v143
	v_mul_f16_e64 v206, 0xb1e1, v21
	v_add_f16_e64 v144, v145, v144
	v_add_f16_e64 v145, v163, v156
	v_fma_f16 v156, v26, 0xb8d2, -v207
	v_mul_f16_e64 v208, 0xb5c8, v97
	v_fma_f16 v163, 0xbbdd, v92, v206
	v_mul_f16_e64 v210, 0x35c8, v22
	v_mul_f16_e64 v211, 0xb1e1, v101
	v_add_f16_e64 v145, v156, v145
	v_fma_f16 v156, v4, 0x3b76, -v208
	v_add_f16_e64 v163, v78, v163
	v_fma_f16 v212, 0x3b76, v89, v210
	v_mul_f16_e64 v213, 0xb836, v14
	v_fma_f16 v164, v92, 0xbacd, -v164
	v_add_f16_e64 v145, v156, v145
	v_fma_f16 v156, v20, 0xbbdd, -v211
	v_mul_f16_e64 v214, 0x3964, v104
	v_add_f16_e64 v163, v212, v163
	v_fma_f16 v212, 0xbacd, v90, v213
	v_mul_f16_e64 v215, 0x3964, v23
	v_add_f16_e64 v164, v78, v164
	v_fma_f16 v165, v89, 0x3722, -v165
	v_add_f16_e64 v145, v156, v145
	v_fma_f16 v156, v41, 0x39e9, -v214
	v_add_f16_e64 v163, v212, v163
	v_fma_f16 v212, 0x39e9, v88, v215
	v_mul_f16_e64 v217, 0xba62, v11
	v_add_f16_e64 v165, v165, v164
	v_fma_f16 v196, v90, 0x2de8, -v196
	v_fma_f16 v94, v92, 0x39e9, -v94
	v_add_f16_e64 v145, v156, v145
	v_add_f16_e64 v156, v212, v163
	v_fma_f16 v163, 0xb8d2, v91, v217
	v_mul_f16_e64 v212, 0x3b29, v28
	v_add_f16_e64 v165, v196, v165
	v_fma_f16 v196, v88, 0xb8d2, -v198
	v_add_f16_e32 v94, v78, v94
	v_fma_f16 v98, v89, 0x2de8, -v98
	v_add_f16_e64 v156, v163, v156
	v_fma_f16 v163, 0x3722, v99, v212
	v_mul_f16_e64 v221, 0xbbb2, v1
	v_fmac_f16_e64 v200, 0xbacd, v27
	v_add_f16_e64 v165, v196, v165
	v_fma_f16 v196, v91, 0x3b76, -v199
	v_add_f16_e32 v94, v98, v94
	v_fma_f16 v98, v90, 0xb8d2, -v100
	v_mul_f16_e64 v209, 0xbbb2, v2
	v_fma_f16 v174, v92, 0xb461, -v174
	v_add_f16_e64 v156, v163, v156
	v_fma_f16 v163, 0xb461, v85, v221
	v_add_f16_e64 v200, v16, v200
	v_fmac_f16_e64 v203, 0x3722, v30
	v_add_f16_e64 v165, v196, v165
	v_fma_f16 v196, v99, 0xbbdd, -v201
	v_add_f16_e32 v94, v98, v94
	v_fma_f16 v98, v88, 0xbbdd, -v110
	v_fmac_f16_e32 v119, 0x39e9, v27
	v_fma_f16 v216, 0xb461, v102, v209
	v_add_f16_e64 v174, v78, v174
	v_fma_f16 v175, v89, 0xbacd, -v175
	v_add_f16_e64 v156, v163, v156
	v_fma_f16 v163, v92, 0xbbdd, -v206
	v_add_f16_e64 v199, v203, v200
	v_add_f16_e64 v196, v196, v165
	v_fma_f16 v200, v85, 0x39e9, -v204
	v_fma_f16 v167, v92, 0xb8d2, -v167
	;; [unrolled: 1-line block ×4, first 2 shown]
	v_add_f16_e32 v94, v98, v94
	v_fma_f16 v98, v91, 0xbacd, -v108
	v_add_f16_e32 v108, v16, v119
	v_fmac_f16_e32 v113, 0x2de8, v30
	v_mul_f16_e32 v92, 0x3b76, v92
	v_add_f16_e64 v144, v216, v144
	v_mul_f16_e64 v216, 0xb1e1, v105
	v_add_f16_e64 v174, v175, v174
	v_fma_f16 v175, v90, 0x39e9, -v176
	v_add_f16_e64 v163, v78, v163
	v_fma_f16 v210, v89, 0x3b76, -v210
	v_add_f16_e64 v196, v200, v196
	v_add_f16_e64 v200, v78, v167
	v_fma_f16 v182, v89, 0xb461, -v182
	v_add_f16_e64 v151, v78, v151
	v_fma_f16 v152, v89, 0xbbdd, -v152
	v_fma_f16 v135, v89, 0xb8d2, -v135
	v_add_f16_e32 v94, v98, v94
	v_fma_f16 v98, v99, 0xb461, -v111
	v_add_f16_e32 v108, v113, v108
	v_fmac_f16_e32 v114, 0xb8d2, v81
	v_fmamk_f16 v111, v21, 0x35c8, v92
	v_mul_f16_e32 v89, 0x39e9, v89
	v_fma_f16 v219, v27, 0xbbdd, -v216
	v_mul_f16_e64 v220, 0x35c8, v107
	v_add_f16_e64 v174, v175, v174
	v_fma_f16 v175, v88, 0x3722, -v177
	v_fmac_f16_e64 v179, 0xb461, v27
	v_add_f16_e64 v163, v210, v163
	v_fma_f16 v210, v90, 0xbacd, -v213
	v_add_f16_e64 v182, v182, v200
	v_fma_f16 v183, v90, 0x3b76, -v183
	;; [unrolled: 2-line block ×3, first 2 shown]
	v_fma_f16 v129, v90, 0xbbdd, -v129
	v_add_f16_e32 v94, v98, v94
	v_add_f16_e32 v98, v114, v108
	;; [unrolled: 1-line block ×3, first 2 shown]
	v_fmamk_f16 v111, v22, 0x3964, v89
	v_mul_f16_e32 v90, 0x3722, v90
	v_add_f16_e64 v219, v16, v219
	v_fma_f16 v222, v30, 0x3b76, -v220
	v_mul_f16_e64 v223, 0xb836, v95
	v_add_f16_e64 v174, v175, v174
	v_fma_f16 v175, v91, 0xbbdd, -v178
	v_add_f16_e64 v178, v16, v179
	v_fmac_f16_e64 v168, 0xbacd, v30
	v_add_f16_e64 v163, v210, v163
	v_fma_f16 v210, v88, 0x39e9, -v215
	v_add_f16_e64 v182, v183, v182
	v_fma_f16 v183, v88, 0xbacd, -v184
	;; [unrolled: 2-line block ×3, first 2 shown]
	v_fma_f16 v130, v88, 0xb461, -v130
	v_fma_f16 v109, v85, 0x3722, -v109
	v_add_f16_e32 v108, v111, v108
	v_fmamk_f16 v111, v14, 0x3b29, v90
	v_mul_f16_e32 v88, 0x2de8, v88
	v_add_f16_e64 v219, v222, v219
	v_fma_f16 v222, v81, 0xbacd, -v223
	v_mul_f16_e64 v225, 0x3964, v96
	v_add_f16_e32 v39, v16, v39
	v_add_f16_e32 v40, v40, v78
	v_add_f16_e64 v168, v168, v178
	v_fmac_f16_e64 v169, 0x39e9, v81
	v_add_f16_e64 v163, v210, v163
	v_fma_f16 v210, v91, 0xb8d2, -v217
	v_add_f16_e64 v182, v183, v182
	v_fma_f16 v183, v91, 0x2de8, -v185
	;; [unrolled: 2-line block ×3, first 2 shown]
	v_fma_f16 v128, v91, 0x39e9, -v128
	v_add_f16_e32 v94, v109, v94
	v_add_f16_e32 v108, v111, v108
	v_fmamk_f16 v109, v23, 0x3bf7, v88
	v_mul_f16_e32 v91, 0xb461, v91
	v_add_f16_e64 v206, v222, v219
	v_fma_f16 v219, v26, 0x39e9, -v225
	v_mul_f16_e64 v222, 0xba62, v97
	v_add_f16_e32 v25, v25, v39
	v_add_f16_e32 v37, v37, v40
	v_add_f16_e64 v168, v169, v168
	v_fmac_f16_e64 v170, 0x3722, v26
	v_fma_f16 v212, v99, 0x3722, -v212
	v_add_f16_e64 v182, v183, v182
	v_fma_f16 v183, v99, 0x39e9, -v187
	v_add_f16_e64 v174, v175, v174
	;; [unrolled: 2-line block ×3, first 2 shown]
	v_fma_f16 v147, v99, 0xbacd, -v153
	v_fma_f16 v126, v99, 0x3b76, -v126
	v_add_f16_e32 v108, v109, v108
	v_fmamk_f16 v109, v11, 0x3bb2, v91
	v_mul_f16_e32 v99, 0xb8d2, v99
	v_mul_f16_e32 v105, 0xb5c8, v105
	v_add_f16_e64 v206, v219, v206
	v_fma_f16 v219, v4, 0xb8d2, -v222
	v_mul_f16_e64 v226, 0x3b29, v101
	v_add_f16_e32 v25, v36, v25
	v_add_f16_e32 v35, v35, v37
	v_add_f16_e64 v155, v170, v168
	v_fmac_f16_e64 v171, 0xbbdd, v4
	v_fmac_f16_e64 v157, 0x2de8, v27
	v_fma_f16 v111, v102, 0x3b76, -v115
	v_add_f16_e32 v108, v109, v108
	v_fmamk_f16 v109, v28, 0x3a62, v99
	v_fmamk_f16 v113, v27, 0x3b76, v105
	v_mul_f16_e32 v107, 0xb964, v107
	v_add_f16_e64 v206, v219, v206
	v_fma_f16 v213, v20, 0x3722, -v226
	v_mul_f16_e64 v219, 0xbbb2, v104
	v_add_f16_e32 v25, v38, v25
	v_add_f16_e32 v34, v34, v35
	v_add_f16_e64 v152, v171, v155
	v_fmac_f16_e64 v172, 0x2de8, v20
	v_add_f16_e64 v155, v16, v157
	v_fmac_f16_e64 v158, 0xbbdd, v30
	v_add_f16_e32 v94, v111, v94
	v_add_f16_e32 v108, v109, v108
	v_add_f16_e32 v109, v16, v113
	v_fmamk_f16 v111, v30, 0x39e9, v107
	v_mul_f16_e32 v95, 0xbb29, v95
	v_add_f16_e64 v206, v213, v206
	v_fma_f16 v213, v41, 0xb461, -v219
	v_mul_f16_e64 v215, 0x3bf7, v106
	v_fmac_f16_e64 v216, 0xbbdd, v27
	v_add_f16_e32 v25, v31, v25
	v_add_f16_e32 v31, v32, v34
	v_add_f16_e64 v151, v172, v152
	v_add_f16_e64 v152, v158, v155
	v_fmac_f16_e64 v159, 0xb461, v81
	v_add_f16_e32 v109, v111, v109
	v_fmamk_f16 v39, v81, 0x3722, v95
	v_mul_f16_e32 v40, 0xbbf7, v96
	v_add_f16_e64 v206, v213, v206
	v_fma_f16 v213, v80, 0x2de8, -v215
	v_add_f16_e64 v216, v16, v216
	v_fmac_f16_e64 v220, 0x3b76, v30
	v_add_f16_e32 v25, v33, v25
	v_add_f16_e32 v31, v79, v31
	v_add_f16_e64 v152, v159, v152
	v_fmac_f16_e64 v148, 0x3b76, v26
	v_add_f16_e32 v36, v39, v109
	v_fmamk_f16 v37, v26, 0x2de8, v40
	v_mul_f16_e32 v39, 0xbbb2, v97
	v_add_f16_e64 v210, v210, v163
	v_add_f16_e64 v163, v213, v206
	;; [unrolled: 1-line block ×3, first 2 shown]
	v_fmac_f16_e64 v223, 0xbacd, v81
	v_add_f16_e32 v25, v42, v25
	v_add_f16_e32 v31, v82, v31
	v_add_f16_e64 v148, v148, v152
	v_fmac_f16_e64 v160, 0x3722, v4
	v_add_f16_e32 v36, v37, v36
	v_fmamk_f16 v37, v4, 0xb461, v39
	v_mul_f16_e32 v32, 0xba62, v101
	v_add_f16_e64 v206, v223, v206
	v_fmac_f16_e64 v225, 0x39e9, v26
	v_add_f16_e32 v25, v84, v25
	v_add_f16_e32 v31, v93, v31
	v_add_f16_e64 v134, v78, v134
	v_add_f16_e64 v148, v160, v148
	v_fmac_f16_e64 v149, 0xbacd, v20
	v_fmac_f16_e64 v140, 0x3722, v27
	v_fmac_f16_e64 v186, 0xb8d2, v27
	v_add_f16_e32 v36, v37, v36
	v_fmamk_f16 v33, v20, 0xb8d2, v32
	v_mul_f16_e32 v37, 0xb836, v104
	v_add_f16_e64 v206, v225, v206
	v_fmac_f16_e64 v222, 0xb8d2, v4
	v_add_f16_e32 v25, v83, v25
	v_add_f16_e32 v31, v87, v31
	v_add_f16_e64 v134, v135, v134
	v_add_f16_e64 v135, v149, v148
	v_fmac_f16_e64 v150, 0xb8d2, v41
	v_add_f16_e64 v140, v16, v140
	v_fmac_f16_e64 v141, 0xb8d2, v30
	;; [unrolled: 2-line block ×3, first 2 shown]
	v_add_f16_e32 v33, v33, v36
	v_fmamk_f16 v36, v41, 0xbacd, v37
	v_fmac_f16_e32 v92, 0xb5c8, v21
	v_fma_f16 v27, v27, 0x3b76, -v105
	v_add_f16_e64 v198, v222, v206
	v_fmac_f16_e64 v226, 0x3722, v20
	v_add_f16_e32 v25, v29, v25
	v_add_f16_e32 v5, v5, v31
	v_add_f16_e64 v129, v129, v134
	v_add_f16_e64 v134, v150, v135
	;; [unrolled: 1-line block ×3, first 2 shown]
	v_fmac_f16_e64 v131, 0xbbdd, v81
	v_add_f16_e64 v186, v189, v186
	v_fmac_f16_e64 v191, 0x3b76, v81
	v_add_f16_e32 v21, v36, v33
	v_add_f16_e32 v36, v78, v92
	v_fmac_f16_e32 v89, 0xb964, v22
	v_fmac_f16_e32 v90, 0xbb29, v14
	v_add_f16_e32 v14, v16, v27
	v_fma_f16 v16, v30, 0x39e9, -v107
	v_add_f16_e64 v198, v226, v198
	v_fmac_f16_e64 v219, 0xb461, v41
	v_fmac_f16_e64 v205, 0x2de8, v81
	v_add_f16_e32 v0, v0, v25
	v_add_f16_e32 v5, v6, v5
	v_fmac_f16_e32 v116, 0xbbdd, v26
	v_add_f16_e64 v129, v130, v129
	v_add_f16_e64 v131, v131, v135
	v_fmac_f16_e64 v132, 0xb461, v26
	v_add_f16_e64 v185, v191, v186
	v_fmac_f16_e64 v192, 0xbacd, v26
	v_add_f16_e32 v29, v89, v36
	v_add_f16_e32 v14, v16, v14
	v_fma_f16 v16, v81, 0x3722, -v95
	v_add_f16_e64 v198, v219, v198
	v_fmac_f16_e64 v215, 0x2de8, v80
	v_add_f16_e64 v199, v205, v199
	v_fmac_f16_e64 v207, 0xb8d2, v26
	v_add_f16_e32 v0, v13, v0
	v_add_f16_e32 v5, v7, v5
	;; [unrolled: 1-line block ×3, first 2 shown]
	v_fmac_f16_e32 v118, 0xbacd, v4
	v_add_f16_e64 v128, v128, v129
	v_add_f16_e64 v129, v132, v131
	v_fmac_f16_e64 v139, 0x39e9, v4
	v_add_f16_e64 v185, v192, v185
	v_fmac_f16_e64 v193, 0x2de8, v4
	v_add_f16_e32 v6, v90, v29
	v_fmac_f16_e32 v88, 0xbbf7, v23
	v_fmac_f16_e32 v91, 0xbbb2, v11
	v_add_f16_e32 v7, v16, v14
	v_fma_f16 v11, v26, 0x2de8, -v40
	v_mul_f16_e64 v218, 0xbbb2, v106
	v_add_f16_e64 v165, v215, v198
	v_add_f16_e64 v198, v207, v199
	v_fmac_f16_e64 v208, 0x3b76, v4
	v_add_f16_e32 v0, v10, v0
	v_add_f16_e32 v5, v12, v5
	v_add_f16_e64 v210, v212, v210
	v_fma_f16 v212, v85, 0xb461, -v221
	v_add_f16_e64 v182, v183, v182
	v_fma_f16 v183, v85, 0xbbdd, -v190
	v_fma_f16 v166, v85, 0x3b76, -v166
	v_add_f16_e64 v146, v147, v146
	v_fma_f16 v147, v85, 0xb8d2, -v154
	v_fma_f16 v127, v85, 0x2de8, -v127
	v_add_f16_e32 v98, v118, v98
	v_fmac_f16_e32 v121, 0xb461, v20
	v_mul_f16_e32 v85, 0xbacd, v85
	v_add_f16_e64 v100, v139, v129
	v_fmac_f16_e64 v142, 0x3b76, v20
	v_add_f16_e64 v176, v193, v185
	v_fmac_f16_e64 v195, 0x39e9, v20
	v_add_f16_e32 v6, v88, v6
	v_add_f16_e32 v7, v11, v7
	v_fma_f16 v4, v4, 0xb461, -v39
	v_fma_f16 v224, v80, 0xb461, -v218
	;; [unrolled: 1-line block ×3, first 2 shown]
	v_add_f16_e64 v198, v208, v198
	v_fmac_f16_e64 v211, 0xbbdd, v20
	v_add_f16_e32 v0, v19, v0
	v_add_f16_e32 v5, v9, v5
	;; [unrolled: 1-line block ×3, first 2 shown]
	v_fmac_f16_e32 v120, 0x3722, v41
	v_fmamk_f16 v96, v1, 0x3836, v85
	v_mul_f16_e32 v34, 0xbbdd, v102
	v_mul_f16_e32 v33, 0xb1e1, v106
	v_add_f16_e64 v126, v126, v128
	v_add_f16_e64 v100, v142, v100
	v_fmac_f16_e64 v136, 0x2de8, v41
	v_add_f16_e64 v176, v195, v176
	v_fmac_f16_e64 v197, 0xbbdd, v41
	v_add_f16_e64 v174, v175, v174
	v_fmac_f16_e64 v173, 0x3b76, v41
	v_add_f16_e32 v6, v91, v6
	v_fmac_f16_e32 v99, 0xba62, v28
	v_fmac_f16_e32 v85, 0xb836, v1
	v_add_f16_e32 v1, v4, v7
	v_fma_f16 v4, v20, 0xb8d2, -v32
	v_add_f16_e64 v145, v224, v145
	v_mul_f16_e64 v224, 0x3bf7, v2
	v_add_f16_e64 v167, v199, v196
	v_add_f16_e64 v196, v211, v198
	v_fmac_f16_e64 v214, 0x39e9, v41
	v_add_f16_e32 v0, v18, v0
	v_add_f16_e32 v5, v8, v5
	;; [unrolled: 1-line block ×3, first 2 shown]
	v_fmac_f16_e32 v123, 0x3b76, v80
	v_add_f16_e32 v35, v96, v108
	v_fmamk_f16 v38, v2, 0x31e1, v34
	v_fmamk_f16 v22, v80, 0xbbdd, v33
	v_add_f16_e64 v146, v147, v146
	v_fma_f16 v147, v102, 0x39e9, -v161
	v_fmac_f16_e64 v162, 0x39e9, v80
	v_add_f16_e32 v126, v127, v126
	v_fma_f16 v127, v102, 0xbacd, -v138
	v_add_f16_e64 v100, v136, v100
	v_fmac_f16_e64 v137, 0xbacd, v80
	v_add_f16_e64 v182, v183, v182
	v_fma_f16 v183, v102, 0x3722, -v194
	v_add_f16_e64 v176, v197, v176
	v_fmac_f16_e64 v202, 0x3722, v80
	v_add_f16_e64 v166, v166, v174
	v_fma_f16 v169, v102, 0xb8d2, -v181
	v_add_f16_e64 v151, v173, v151
	v_fmac_f16_e64 v188, 0xb8d2, v80
	v_add_f16_e32 v6, v99, v6
	v_fmac_f16_e32 v34, 0xb1e1, v2
	v_add_f16_e32 v1, v4, v1
	v_fma_f16 v2, v41, 0xbacd, -v37
	v_add_f16_e64 v210, v212, v210
	v_fma_f16 v212, v102, 0x2de8, -v224
	v_add_f16_e64 v184, v214, v196
	v_fmac_f16_e64 v218, 0xb461, v80
	v_add_f16_e32 v0, v17, v0
	v_add_f16_e32 v4, v15, v5
	v_fma_f16 v227, 0x2de8, v102, v224
	v_add_f16_e32 v98, v123, v98
	v_add_f16_e32 v35, v38, v35
	;; [unrolled: 1-line block ×3, first 2 shown]
	v_add_f16_e64 v146, v147, v146
	v_add_f16_e64 v130, v162, v134
	v_add_f16_e32 v110, v127, v126
	v_add_f16_e64 v100, v137, v100
	v_add_f16_e64 v177, v183, v182
	v_add_f16_e64 v176, v202, v176
	v_add_f16_e64 v166, v169, v166
	v_add_f16_e64 v151, v188, v151
	v_add_f16_e32 v6, v85, v6
	v_add_f16_e32 v1, v2, v1
	v_fma_f16 v2, v80, 0xbbdd, -v33
	v_add_f16_e64 v164, v212, v210
	v_add_f16_e64 v184, v218, v184
	v_pack_b32_f16 v0, v0, v4
	v_add_f16_e64 v156, v227, v156
	v_lshl_add_u32 v4, v69, 2, v77
	v_pack_b32_f16 v5, v5, v35
	v_pack_b32_f16 v7, v98, v94
	;; [unrolled: 1-line block ×6, first 2 shown]
	v_add_f16_e32 v6, v34, v6
	v_add_f16_e32 v1, v2, v1
	ds_store_b32 v48, v0
	ds_store_2addr_b32 v4, v5, v7 offset0:16 offset1:32
	ds_store_2addr_b32 v4, v8, v9 offset0:48 offset1:64
	;; [unrolled: 1-line block ×3, first 2 shown]
	v_pack_b32_f16 v0, v184, v167
	v_pack_b32_f16 v2, v165, v164
	;; [unrolled: 1-line block ×10, first 2 shown]
	v_add_nc_u32_e32 v6, 0x200, v4
	ds_store_2addr_b32 v4, v0, v2 offset0:112 offset1:128
	ds_store_2addr_b32 v4, v5, v7 offset0:144 offset1:160
	;; [unrolled: 1-line block ×5, first 2 shown]
.LBB0_9:
	s_wait_alu 0xfffe
	s_or_b32 exec_lo, exec_lo, s2
	global_wb scope:SCOPE_SE
	s_wait_dscnt 0x0
	s_barrier_signal -1
	s_barrier_wait -1
	global_inv scope:SCOPE_SE
	ds_load_2addr_b32 v[0:1], v48 offset1:17
	ds_load_2addr_b32 v[2:3], v48 offset0:34 offset1:51
	s_mov_b32 s8, 0x1e1e1e1e
	s_mov_b32 s9, 0x3f6e1e1e
	v_mad_co_u64_u32 v[14:15], null, s4, v69, 0
	s_wait_dscnt 0x1
	v_lshrrev_b32_e32 v4, 16, v0
	v_mul_f16_e32 v5, v76, v0
	v_lshrrev_b32_e32 v6, 16, v1
	v_mul_f16_e32 v7, v75, v1
	s_wait_dscnt 0x0
	v_lshrrev_b32_e32 v12, 16, v2
	v_mul_f16_e32 v8, v76, v4
	v_fma_f16 v5, v72, v4, -v5
	v_mul_f16_e32 v9, v75, v6
	v_fma_f16 v4, v73, v6, -v7
	v_mul_f16_e32 v10, v74, v12
	v_fmac_f16_e32 v8, v72, v0
	v_cvt_f32_f16_e32 v5, v5
	v_fmac_f16_e32 v9, v73, v1
	v_cvt_f32_f16_e32 v0, v4
	;; [unrolled: 2-line block ×3, first 2 shown]
	v_cvt_f64_f32_e32 v[4:5], v5
	v_mul_f16_e32 v2, v74, v2
	v_cvt_f64_f32_e32 v[6:7], v0
	v_cvt_f32_f16_e32 v10, v10
	v_cvt_f64_f32_e32 v[0:1], v8
	v_cvt_f32_f16_e32 v8, v9
	v_fma_f16 v2, v71, v12, -v2
	v_mad_co_u64_u32 v[12:13], null, s6, v24, 0
	v_cvt_f64_f32_e32 v[10:11], v10
	s_delay_alu instid0(VALU_DEP_4) | instskip(NEXT) | instid1(VALU_DEP_4)
	v_cvt_f64_f32_e32 v[8:9], v8
	v_cvt_f32_f16_e32 v2, v2
	s_delay_alu instid0(VALU_DEP_1) | instskip(SKIP_1) | instid1(VALU_DEP_1)
	v_cvt_f64_f32_e32 v[16:17], v2
	v_dual_mov_b32 v2, v13 :: v_dual_mov_b32 v13, v15
	v_mad_co_u64_u32 v[18:19], null, s7, v24, v[2:3]
	s_delay_alu instid0(VALU_DEP_2) | instskip(SKIP_1) | instid1(VALU_DEP_2)
	v_mad_co_u64_u32 v[19:20], null, s5, v69, v[13:14]
	v_lshrrev_b32_e32 v2, 16, v3
	v_mov_b32_e32 v15, v19
	s_delay_alu instid0(VALU_DEP_1)
	v_lshlrev_b64_e32 v[14:15], 2, v[14:15]
	s_wait_alu 0xfffe
	v_mul_f64_e32 v[4:5], s[8:9], v[4:5]
	v_mul_f64_e32 v[6:7], s[8:9], v[6:7]
	;; [unrolled: 1-line block ×6, first 2 shown]
	v_and_or_b32 v4, 0x1ff, v5, v4
	v_bfe_u32 v19, v5, 20, 11
	v_and_or_b32 v6, 0x1ff, v7, v6
	v_lshrrev_b32_e32 v20, 8, v7
	v_and_or_b32 v0, 0x1ff, v1, v0
	v_bfe_u32 v23, v1, 20, 11
	v_lshrrev_b32_e32 v22, 8, v1
	v_sub_nc_u32_e32 v24, 0x3f1, v19
	v_bfe_u32 v21, v7, 20, 11
	v_and_or_b32 v10, 0x1ff, v11, v10
	v_bfe_u32 v26, v9, 20, 11
	v_mov_b32_e32 v13, v18
	v_mul_f16_e32 v18, v70, v2
	v_and_or_b32 v8, 0x1ff, v9, v8
	v_sub_nc_u32_e32 v30, 0x3f1, v23
	v_add_nc_u32_e32 v19, 0xfffffc10, v19
	v_lshlrev_b64_e32 v[12:13], 2, v[12:13]
	v_fmac_f16_e32 v18, v67, v3
	v_lshrrev_b32_e32 v25, 8, v9
	v_lshrrev_b32_e32 v28, 8, v11
	v_sub_nc_u32_e32 v27, 0x3f1, v21
	v_add_nc_u32_e32 v23, 0xfffffc10, v23
	v_add_co_u32 v12, vcc_lo, s0, v12
	s_wait_alu 0xfffd
	v_add_co_ci_u32_e32 v13, vcc_lo, s1, v13, vcc_lo
	v_cvt_f32_f16_e32 v18, v18
	s_delay_alu instid0(VALU_DEP_3) | instskip(SKIP_1) | instid1(VALU_DEP_3)
	v_add_co_u32 v12, vcc_lo, v12, v14
	s_wait_alu 0xfffd
	v_add_co_ci_u32_e32 v13, vcc_lo, v13, v15, vcc_lo
	v_cmp_ne_u32_e32 vcc_lo, 0, v4
	v_cvt_f64_f32_e32 v[14:15], v18
	v_lshrrev_b32_e32 v18, 8, v5
	v_lshrrev_b32_e32 v1, 16, v1
	;; [unrolled: 1-line block ×3, first 2 shown]
	s_wait_alu 0xfffd
	v_cndmask_b32_e64 v4, 0, 1, vcc_lo
	v_cmp_ne_u32_e32 vcc_lo, 0, v6
	v_bfe_u32 v29, v11, 20, 11
	v_lshrrev_b32_e32 v9, 16, v9
	v_mul_f16_e32 v3, v70, v3
	v_and_or_b32 v4, 0xffe, v18, v4
	s_wait_alu 0xfffd
	v_cndmask_b32_e64 v6, 0, 1, vcc_lo
	v_cmp_ne_u32_e32 vcc_lo, 0, v0
	v_med3_i32 v18, v24, 0, 13
	v_sub_nc_u32_e32 v24, 0x3f1, v26
	v_lshl_or_b32 v31, v19, 12, v4
	v_and_or_b32 v6, 0xffe, v20, v6
	s_wait_alu 0xfffd
	v_cndmask_b32_e64 v0, 0, 1, vcc_lo
	v_cmp_ne_u32_e32 vcc_lo, 0, v8
	v_add_nc_u32_e32 v26, 0xfffffc10, v26
	v_med3_i32 v20, v27, 0, 13
	v_med3_i32 v24, v24, 0, 13
	v_and_or_b32 v0, 0xffe, v22, v0
	s_wait_alu 0xfffd
	v_cndmask_b32_e64 v8, 0, 1, vcc_lo
	v_cmp_ne_u32_e32 vcc_lo, 0, v10
	v_med3_i32 v22, v30, 0, 13
	v_or_b32_e32 v30, 0x1000, v4
	v_lshl_or_b32 v33, v23, 12, v0
	v_and_or_b32 v8, 0xffe, v25, v8
	s_wait_alu 0xfffd
	v_cndmask_b32_e64 v10, 0, 1, vcc_lo
	v_cmp_ne_u32_e32 vcc_lo, 0, v4
	v_lshrrev_b32_e32 v34, v18, v30
	v_or_b32_e32 v25, 0x1000, v6
	v_or_b32_e32 v35, 0x1000, v8
	v_and_or_b32 v10, 0xffe, v28, v10
	s_wait_alu 0xfffd
	v_cndmask_b32_e64 v4, 0, 1, vcc_lo
	v_or_b32_e32 v28, 0x1000, v0
	v_cmp_ne_u32_e32 vcc_lo, 0, v0
	v_lshlrev_b32_e32 v18, v18, v34
	v_lshl_or_b32 v36, v26, 12, v8
	v_lshrrev_b32_e32 v37, v20, v25
	v_lshrrev_b32_e32 v38, v22, v28
	s_wait_alu 0xfffd
	v_cndmask_b32_e64 v0, 0, 1, vcc_lo
	v_cmp_ne_u32_e32 vcc_lo, 0, v8
	v_lshrrev_b32_e32 v40, v24, v35
	v_lshlrev_b32_e32 v20, v20, v37
	v_lshlrev_b32_e32 v22, v22, v38
	v_lshl_or_b32 v0, v0, 9, 0x7c00
	s_wait_alu 0xfffd
	v_cndmask_b32_e64 v8, 0, 1, vcc_lo
	v_cmp_ne_u32_e32 vcc_lo, v18, v30
	v_lshlrev_b32_e32 v24, v24, v40
	v_lshl_or_b32 v4, v4, 9, 0x7c00
	v_sub_nc_u32_e32 v27, 0x3f1, v29
	v_or_b32_e32 v39, 0x1000, v10
	s_wait_alu 0xfffd
	v_cndmask_b32_e64 v18, 0, 1, vcc_lo
	v_cmp_ne_u32_e32 vcc_lo, v22, v28
	v_lshrrev_b32_e32 v7, 16, v7
	v_med3_i32 v27, v27, 0, 13
	v_lshrrev_b32_e32 v11, 16, v11
	v_or_b32_e32 v18, v34, v18
	s_wait_alu 0xfffd
	v_cndmask_b32_e64 v22, 0, 1, vcc_lo
	v_cmp_ne_u32_e32 vcc_lo, v20, v25
	s_delay_alu instid0(VALU_DEP_2) | instskip(SKIP_3) | instid1(VALU_DEP_2)
	v_or_b32_e32 v22, v38, v22
	s_wait_alu 0xfffd
	v_cndmask_b32_e64 v20, 0, 1, vcc_lo
	v_cmp_ne_u32_e32 vcc_lo, v24, v35
	v_or_b32_e32 v20, v37, v20
	s_wait_alu 0xfffd
	v_cndmask_b32_e64 v24, 0, 1, vcc_lo
	v_cmp_gt_i32_e32 vcc_lo, 1, v19
	s_delay_alu instid0(VALU_DEP_2)
	v_or_b32_e32 v24, v40, v24
	s_wait_alu 0xfffd
	v_cndmask_b32_e32 v18, v31, v18, vcc_lo
	v_cmp_gt_i32_e32 vcc_lo, 1, v23
	s_wait_alu 0xfffd
	v_dual_cndmask_b32 v22, v33, v22 :: v_dual_add_nc_u32 v21, 0xfffffc10, v21
	s_delay_alu instid0(VALU_DEP_1) | instskip(SKIP_1) | instid1(VALU_DEP_3)
	v_lshl_or_b32 v32, v21, 12, v6
	v_cmp_gt_i32_e32 vcc_lo, 1, v21
	v_and_b32_e32 v28, 7, v22
	v_lshrrev_b32_e32 v22, 2, v22
	s_wait_alu 0xfffd
	v_cndmask_b32_e32 v20, v32, v20, vcc_lo
	v_cmp_gt_i32_e32 vcc_lo, 1, v26
	v_and_b32_e32 v25, 7, v18
	v_cmp_eq_u32_e64 s0, 3, v28
	v_lshrrev_b32_e32 v18, 2, v18
	v_and_b32_e32 v30, 7, v20
	s_wait_alu 0xfffd
	v_cndmask_b32_e32 v24, v36, v24, vcc_lo
	v_cmp_lt_i32_e32 vcc_lo, 5, v28
	v_cmp_lt_i32_e64 s1, 5, v25
	v_cmp_eq_u32_e64 s2, 3, v25
	s_or_b32 vcc_lo, s0, vcc_lo
	v_cmp_gt_i32_e64 s0, 31, v19
	s_wait_alu 0xfffe
	v_add_co_ci_u32_e32 v22, vcc_lo, 0, v22, vcc_lo
	s_or_b32 vcc_lo, s2, s1
	v_cmp_eq_u32_e64 s1, 0x40f, v19
	s_wait_alu 0xfffe
	v_add_co_ci_u32_e32 v18, vcc_lo, 0, v18, vcc_lo
	v_cmp_gt_i32_e32 vcc_lo, 31, v23
	v_and_b32_e32 v25, 7, v24
	s_mul_u64 s[2:3], s[4:5], 0x44
	s_delay_alu instid0(VALU_DEP_3)
	v_cndmask_b32_e64 v18, 0x7c00, v18, s0
	v_cmp_eq_u32_e64 s0, 0x40f, v23
	s_wait_alu 0xfffd
	v_cndmask_b32_e32 v22, 0x7c00, v22, vcc_lo
	v_cmp_lt_i32_e32 vcc_lo, 5, v25
	v_cndmask_b32_e64 v4, v18, v4, s1
	v_cmp_eq_u32_e64 s1, 0x40f, v26
	s_wait_alu 0xf1ff
	v_cndmask_b32_e64 v0, v22, v0, s0
	v_cmp_eq_u32_e64 s0, 3, v25
	v_lshrrev_b32_e32 v22, 2, v24
	v_and_or_b32 v4, 0x8000, v5, v4
	v_lshl_or_b32 v5, v8, 9, 0x7c00
	v_and_or_b32 v0, 0x8000, v1, v0
	s_or_b32 vcc_lo, s0, vcc_lo
	v_cmp_gt_i32_e64 s0, 31, v26
	s_wait_alu 0xfffe
	v_add_co_ci_u32_e32 v1, vcc_lo, 0, v22, vcc_lo
	v_and_b32_e32 v0, 0xffff, v0
	v_cmp_lt_i32_e32 vcc_lo, 5, v30
	v_add_nc_u32_e32 v18, 0xfffffc10, v29
	s_wait_alu 0xf1ff
	v_cndmask_b32_e64 v1, 0x7c00, v1, s0
	v_cmp_eq_u32_e64 s0, 3, v30
	v_lshl_or_b32 v8, v4, 16, v0
	v_lshrrev_b32_e32 v0, 2, v20
	v_lshrrev_b32_e32 v4, v27, v39
	v_cndmask_b32_e64 v1, v1, v5, s1
	s_or_b32 vcc_lo, s0, vcc_lo
	v_lshl_or_b32 v19, v18, 12, v10
	s_wait_alu 0xfffe
	v_add_co_ci_u32_e32 v0, vcc_lo, 0, v0, vcc_lo
	v_cmp_ne_u32_e32 vcc_lo, 0, v6
	v_lshlrev_b32_e32 v6, v27, v4
	v_and_or_b32 v9, 0x8000, v9, v1
	v_and_or_b32 v1, 0x1ff, v17, v16
	global_store_b32 v[12:13], v8, off
	s_wait_alu 0xfffd
	v_cndmask_b32_e64 v5, 0, 1, vcc_lo
	v_cmp_gt_i32_e32 vcc_lo, 31, v21
	v_and_b32_e32 v9, 0xffff, v9
	s_delay_alu instid0(VALU_DEP_3)
	v_lshl_or_b32 v5, v5, 9, 0x7c00
	s_wait_alu 0xfffd
	v_cndmask_b32_e32 v0, 0x7c00, v0, vcc_lo
	v_cmp_ne_u32_e32 vcc_lo, v6, v39
	s_wait_alu 0xfffd
	v_cndmask_b32_e64 v6, 0, 1, vcc_lo
	v_cmp_eq_u32_e32 vcc_lo, 0x40f, v21
	s_delay_alu instid0(VALU_DEP_2)
	v_or_b32_e32 v4, v4, v6
	s_wait_alu 0xfffd
	v_cndmask_b32_e32 v16, v0, v5, vcc_lo
	v_cmp_ne_u32_e32 vcc_lo, 0, v1
	v_mul_f64_e32 v[0:1], s[8:9], v[14:15]
	v_lshrrev_b32_e32 v6, 8, v17
	v_fma_f16 v14, v67, v2, -v3
	v_bfe_u32 v15, v17, 20, 11
	s_wait_alu 0xfffd
	v_cndmask_b32_e64 v5, 0, 1, vcc_lo
	v_cmp_gt_i32_e32 vcc_lo, 1, v18
	ds_load_2addr_b32 v[2:3], v48 offset0:68 offset1:85
	v_and_or_b32 v20, 0xffe, v6, v5
	v_cvt_f32_f16_e32 v5, v14
	v_sub_nc_u32_e32 v6, 0x3f1, v15
	s_wait_alu 0xfffd
	v_dual_cndmask_b32 v14, v19, v4 :: v_dual_add_nc_u32 v15, 0xfffffc10, v15
	v_or_b32_e32 v19, 0x1000, v20
	v_cvt_f64_f32_e32 v[4:5], v5
	v_med3_i32 v6, v6, 0, 13
	v_and_or_b32 v7, 0x8000, v7, v16
	v_and_b32_e32 v21, 7, v14
	s_delay_alu instid0(VALU_DEP_3) | instskip(NEXT) | instid1(VALU_DEP_3)
	v_lshrrev_b32_e32 v8, v6, v19
	v_lshl_or_b32 v16, v7, 16, v9
	s_delay_alu instid0(VALU_DEP_3)
	v_cmp_lt_i32_e32 vcc_lo, 5, v21
	v_cmp_eq_u32_e64 s0, 3, v21
	v_lshrrev_b32_e32 v7, 2, v14
	v_lshlrev_b32_e32 v6, v6, v8
	s_wait_dscnt 0x0
	v_lshrrev_b32_e32 v9, 16, v2
	s_or_b32 vcc_lo, s0, vcc_lo
	s_wait_alu 0xfffe
	v_add_co_ci_u32_e32 v7, vcc_lo, 0, v7, vcc_lo
	v_cmp_ne_u32_e32 vcc_lo, v6, v19
	v_mul_f16_e32 v14, v68, v9
	s_wait_alu 0xfffd
	v_cndmask_b32_e64 v6, 0, 1, vcc_lo
	v_cmp_gt_i32_e32 vcc_lo, 31, v18
	s_delay_alu instid0(VALU_DEP_3)
	v_fmac_f16_e32 v14, v65, v2
	v_and_or_b32 v0, 0x1ff, v1, v0
	v_lshrrev_b32_e32 v21, 8, v1
	v_or_b32_e32 v6, v8, v6
	s_wait_alu 0xfffd
	v_cndmask_b32_e32 v19, 0x7c00, v7, vcc_lo
	v_cmp_ne_u32_e32 vcc_lo, 0, v10
	v_lshl_or_b32 v7, v15, 12, v20
	v_cvt_f32_f16_e32 v10, v14
	v_mul_f16_e32 v2, v68, v2
	s_wait_alu 0xfffd
	v_cndmask_b32_e64 v8, 0, 1, vcc_lo
	v_cmp_gt_i32_e32 vcc_lo, 1, v15
	v_mul_f64_e32 v[4:5], s[8:9], v[4:5]
	v_fma_f16 v2, v65, v9, -v2
	s_delay_alu instid0(VALU_DEP_4)
	v_lshl_or_b32 v8, v8, 9, 0x7c00
	s_wait_alu 0xfffd
	v_cndmask_b32_e32 v14, v7, v6, vcc_lo
	v_cvt_f64_f32_e32 v[6:7], v10
	v_cmp_ne_u32_e32 vcc_lo, 0, v0
	v_bfe_u32 v10, v1, 20, 11
	v_cvt_f32_f16_e32 v2, v2
	v_and_b32_e32 v22, 7, v14
	v_lshrrev_b32_e32 v14, 2, v14
	s_wait_alu 0xfffd
	v_cndmask_b32_e64 v0, 0, 1, vcc_lo
	v_cmp_eq_u32_e32 vcc_lo, 0x40f, v18
	v_lshrrev_b32_e32 v1, 16, v1
	v_cmp_eq_u32_e64 s0, 3, v22
	s_delay_alu instid0(VALU_DEP_4)
	v_and_or_b32 v0, 0xffe, v21, v0
	v_sub_nc_u32_e32 v21, 0x3f1, v10
	s_wait_alu 0xfffd
	v_cndmask_b32_e32 v8, v19, v8, vcc_lo
	v_cmp_lt_i32_e32 vcc_lo, 5, v22
	v_or_b32_e32 v18, 0x1000, v0
	v_med3_i32 v19, v21, 0, 13
	s_delay_alu instid0(VALU_DEP_4)
	v_and_or_b32 v11, 0x8000, v11, v8
	s_or_b32 vcc_lo, s0, vcc_lo
	s_wait_alu 0xfffe
	v_add_co_ci_u32_e32 v14, vcc_lo, 0, v14, vcc_lo
	v_lshrrev_b32_e32 v8, v19, v18
	v_cmp_ne_u32_e32 vcc_lo, 0, v20
	s_wait_alu 0xfffd
	v_cndmask_b32_e64 v20, 0, 1, vcc_lo
	v_cmp_gt_i32_e32 vcc_lo, 31, v15
	v_lshlrev_b32_e32 v19, v19, v8
	s_delay_alu instid0(VALU_DEP_3) | instskip(SKIP_2) | instid1(VALU_DEP_3)
	v_lshl_or_b32 v20, v20, 9, 0x7c00
	s_wait_alu 0xfffd
	v_cndmask_b32_e32 v14, 0x7c00, v14, vcc_lo
	v_cmp_ne_u32_e32 vcc_lo, v19, v18
	v_add_nc_u32_e32 v19, 0xfffffc10, v10
	v_mul_f64_e32 v[6:7], s[8:9], v[6:7]
	v_and_or_b32 v4, 0x1ff, v5, v4
	s_wait_alu 0xfffd
	v_cndmask_b32_e64 v18, 0, 1, vcc_lo
	v_cmp_eq_u32_e32 vcc_lo, 0x40f, v15
	v_lshl_or_b32 v9, v19, 12, v0
	s_delay_alu instid0(VALU_DEP_3)
	v_or_b32_e32 v8, v8, v18
	s_wait_alu 0xfffd
	v_cndmask_b32_e32 v10, v14, v20, vcc_lo
	v_cmp_gt_i32_e32 vcc_lo, 1, v19
	v_lshrrev_b32_e32 v14, 16, v17
	v_lshrrev_b32_e32 v18, 8, v5
	v_bfe_u32 v20, v5, 20, 11
	v_lshrrev_b32_e32 v5, 16, v5
	s_wait_alu 0xfffd
	v_cndmask_b32_e32 v15, v9, v8, vcc_lo
	v_cmp_ne_u32_e32 vcc_lo, 0, v4
	v_cvt_f64_f32_e32 v[8:9], v2
	v_and_or_b32 v2, 0x8000, v14, v10
	v_and_b32_e32 v14, 0xffff, v11
	v_and_b32_e32 v17, 7, v15
	s_wait_alu 0xfffd
	v_cndmask_b32_e64 v4, 0, 1, vcc_lo
	v_add_co_u32 v10, vcc_lo, v12, s2
	v_sub_nc_u32_e32 v12, 0x3f1, v20
	s_wait_alu 0xfffd
	v_add_co_ci_u32_e32 v11, vcc_lo, s3, v13, vcc_lo
	v_and_or_b32 v4, 0xffe, v18, v4
	v_cmp_lt_i32_e32 vcc_lo, 5, v17
	v_cmp_eq_u32_e64 s0, 3, v17
	v_lshl_or_b32 v2, v2, 16, v14
	v_lshrrev_b32_e32 v13, 2, v15
	v_or_b32_e32 v14, 0x1000, v4
	v_med3_i32 v15, v12, 0, 13
	s_or_b32 vcc_lo, s0, vcc_lo
	v_lshrrev_b32_e32 v18, 16, v3
	s_wait_alu 0xfffe
	v_add_co_ci_u32_e32 v21, vcc_lo, 0, v13, vcc_lo
	v_lshrrev_b32_e32 v22, v15, v14
	v_add_co_u32 v12, vcc_lo, v10, s2
	s_wait_alu 0xfffd
	v_add_co_ci_u32_e32 v13, vcc_lo, s3, v11, vcc_lo
	v_mul_f16_e32 v17, v66, v18
	v_lshlrev_b32_e32 v15, v15, v22
	v_cmp_gt_i32_e32 vcc_lo, 31, v19
	v_and_or_b32 v6, 0x1ff, v7, v6
	v_bfe_u32 v24, v7, 20, 11
	v_fmac_f16_e32 v17, v63, v3
	v_add_nc_u32_e32 v20, 0xfffffc10, v20
	s_wait_alu 0xfffd
	v_cndmask_b32_e32 v21, 0x7c00, v21, vcc_lo
	v_cmp_ne_u32_e32 vcc_lo, v15, v14
	s_clause 0x1
	global_store_b32 v[10:11], v16, off
	global_store_b32 v[12:13], v2, off
	v_cvt_f32_f16_e32 v17, v17
	v_mul_f16_e32 v3, v66, v3
	v_mul_f64_e32 v[8:9], s[8:9], v[8:9]
	s_wait_alu 0xfffd
	v_cndmask_b32_e64 v23, 0, 1, vcc_lo
	v_cmp_ne_u32_e32 vcc_lo, 0, v6
	v_cvt_f64_f32_e32 v[14:15], v17
	v_lshrrev_b32_e32 v17, 8, v7
	v_lshrrev_b32_e32 v7, 16, v7
	v_or_b32_e32 v22, v22, v23
	s_wait_alu 0xfffd
	v_cndmask_b32_e64 v6, 0, 1, vcc_lo
	v_cmp_ne_u32_e32 vcc_lo, 0, v0
	v_lshl_or_b32 v23, v20, 12, v4
	s_delay_alu instid0(VALU_DEP_3)
	v_and_or_b32 v6, 0xffe, v17, v6
	v_sub_nc_u32_e32 v17, 0x3f1, v24
	s_wait_alu 0xfffd
	v_cndmask_b32_e64 v0, 0, 1, vcc_lo
	v_cmp_gt_i32_e32 vcc_lo, 1, v20
	v_or_b32_e32 v25, 0x1000, v6
	v_med3_i32 v17, v17, 0, 13
	s_delay_alu instid0(VALU_DEP_4) | instskip(SKIP_4) | instid1(VALU_DEP_1)
	v_lshl_or_b32 v0, v0, 9, 0x7c00
	s_wait_alu 0xfffd
	v_cndmask_b32_e32 v22, v23, v22, vcc_lo
	v_cmp_eq_u32_e32 vcc_lo, 0x40f, v19
	v_lshrrev_b32_e32 v19, v17, v25
	v_lshlrev_b32_e32 v2, v17, v19
	v_add_nc_u32_e32 v17, 0xfffffc10, v24
	s_wait_alu 0xfffd
	v_dual_cndmask_b32 v0, v21, v0 :: v_dual_and_b32 v21, 7, v22
	s_delay_alu instid0(VALU_DEP_3) | instskip(NEXT) | instid1(VALU_DEP_3)
	v_cmp_ne_u32_e64 s1, v2, v25
	v_lshl_or_b32 v11, v17, 12, v6
	s_delay_alu instid0(VALU_DEP_3) | instskip(NEXT) | instid1(VALU_DEP_4)
	v_and_or_b32 v16, 0x8000, v1, v0
	v_cmp_lt_i32_e32 vcc_lo, 5, v21
	v_cmp_eq_u32_e64 s0, 3, v21
	v_lshrrev_b32_e32 v0, 2, v22
	s_wait_alu 0xf1ff
	v_cndmask_b32_e64 v1, 0, 1, s1
	v_and_or_b32 v8, 0x1ff, v9, v8
	v_cmp_eq_u32_e64 s1, 0x40f, v20
	s_or_b32 vcc_lo, s0, vcc_lo
	v_and_b32_e32 v16, 0xffff, v16
	s_wait_alu 0xfffe
	v_add_co_ci_u32_e32 v2, vcc_lo, 0, v0, vcc_lo
	v_cmp_gt_i32_e32 vcc_lo, 31, v20
	v_or_b32_e32 v10, v19, v1
	v_mul_f64_e32 v[0:1], s[8:9], v[14:15]
	s_wait_alu 0xfffd
	v_cndmask_b32_e32 v14, 0x7c00, v2, vcc_lo
	v_cmp_gt_i32_e32 vcc_lo, 1, v17
	v_fma_f16 v2, v63, v18, -v3
	v_bfe_u32 v18, v9, 20, 11
	s_wait_alu 0xfffd
	v_cndmask_b32_e32 v15, v11, v10, vcc_lo
	v_cmp_ne_u32_e32 vcc_lo, 0, v8
	v_lshrrev_b32_e32 v8, 8, v9
	v_cvt_f32_f16_e32 v2, v2
	v_sub_nc_u32_e32 v21, 0x3f1, v18
	v_and_b32_e32 v19, 7, v15
	s_wait_alu 0xfffd
	v_cndmask_b32_e64 v3, 0, 1, vcc_lo
	v_cmp_ne_u32_e32 vcc_lo, 0, v4
	ds_load_2addr_b32 v[10:11], v48 offset0:102 offset1:119
	v_med3_i32 v21, v21, 0, 13
	v_cmp_eq_u32_e64 s0, 3, v19
	v_and_or_b32 v8, 0xffe, v8, v3
	s_wait_alu 0xfffd
	v_cndmask_b32_e64 v4, 0, 1, vcc_lo
	v_cvt_f64_f32_e32 v[2:3], v2
	v_cmp_lt_i32_e32 vcc_lo, 5, v19
	v_add_nc_u32_e32 v18, 0xfffffc10, v18
	v_or_b32_e32 v22, 0x1000, v8
	v_lshl_or_b32 v4, v4, 9, 0x7c00
	s_or_b32 vcc_lo, s0, vcc_lo
	s_delay_alu instid0(VALU_DEP_1) | instskip(SKIP_2) | instid1(VALU_DEP_3)
	v_cndmask_b32_e64 v4, v14, v4, s1
	v_lshrrev_b32_e32 v14, 2, v15
	v_lshrrev_b32_e32 v15, v21, v22
	v_and_or_b32 v20, 0x8000, v5, v4
	s_wait_alu 0xfffe
	s_delay_alu instid0(VALU_DEP_3)
	v_add_co_ci_u32_e32 v14, vcc_lo, 0, v14, vcc_lo
	v_cmp_gt_i32_e32 vcc_lo, 31, v17
	v_lshlrev_b32_e32 v19, v21, v15
	v_and_or_b32 v0, 0x1ff, v1, v0
	v_lshrrev_b32_e32 v21, 8, v1
	v_lshl_or_b32 v16, v20, 16, v16
	s_wait_alu 0xfffd
	v_cndmask_b32_e32 v14, 0x7c00, v14, vcc_lo
	v_cmp_ne_u32_e32 vcc_lo, v19, v22
	s_wait_dscnt 0x0
	v_lshrrev_b32_e32 v19, 16, v10
	v_bfe_u32 v22, v1, 20, 11
	s_wait_alu 0xfffd
	v_cndmask_b32_e64 v4, 0, 1, vcc_lo
	v_cmp_ne_u32_e32 vcc_lo, 0, v6
	v_lshl_or_b32 v6, v18, 12, v8
	s_delay_alu instid0(VALU_DEP_3)
	v_or_b32_e32 v4, v15, v4
	s_wait_alu 0xfffd
	v_cndmask_b32_e64 v5, 0, 1, vcc_lo
	v_cmp_ne_u32_e32 vcc_lo, 0, v0
	v_mul_f16_e32 v15, v64, v19
	v_mul_f64_e32 v[2:3], s[8:9], v[2:3]
	s_wait_alu 0xfffd
	v_cndmask_b32_e64 v0, 0, 1, vcc_lo
	v_cmp_gt_i32_e32 vcc_lo, 1, v18
	v_fmac_f16_e32 v15, v61, v10
	v_mul_f16_e32 v10, v64, v10
	s_delay_alu instid0(VALU_DEP_4)
	v_and_or_b32 v0, 0xffe, v21, v0
	s_wait_alu 0xfffd
	v_cndmask_b32_e32 v6, v6, v4, vcc_lo
	v_sub_nc_u32_e32 v4, 0x3f1, v22
	v_cvt_f32_f16_e32 v15, v15
	v_lshl_or_b32 v21, v5, 9, 0x7c00
	v_cmp_eq_u32_e32 vcc_lo, 0x40f, v17
	v_add_nc_u32_e32 v17, 0xfffffc10, v22
	v_and_b32_e32 v23, 7, v6
	v_or_b32_e32 v24, 0x1000, v0
	v_med3_i32 v25, v4, 0, 13
	s_wait_alu 0xfffd
	v_cndmask_b32_e32 v14, v14, v21, vcc_lo
	v_cvt_f64_f32_e32 v[4:5], v15
	v_cmp_lt_i32_e32 vcc_lo, 5, v23
	v_cmp_eq_u32_e64 s0, 3, v23
	v_lshrrev_b32_e32 v6, 2, v6
	v_lshrrev_b32_e32 v15, v25, v24
	v_and_or_b32 v7, 0x8000, v7, v14
	s_delay_alu instid0(VALU_DEP_4)
	s_or_b32 vcc_lo, s0, vcc_lo
	s_wait_alu 0xfffe
	v_add_co_ci_u32_e32 v6, vcc_lo, 0, v6, vcc_lo
	v_lshlrev_b32_e32 v14, v25, v15
	v_cmp_ne_u32_e32 vcc_lo, 0, v8
	s_wait_alu 0xfffd
	v_cndmask_b32_e64 v8, 0, 1, vcc_lo
	s_delay_alu instid0(VALU_DEP_3) | instskip(SKIP_2) | instid1(VALU_DEP_4)
	v_cmp_ne_u32_e32 vcc_lo, v14, v24
	v_and_or_b32 v2, 0x1ff, v3, v2
	v_bfe_u32 v20, v3, 20, 11
	v_lshl_or_b32 v8, v8, 9, 0x7c00
	s_wait_alu 0xfffd
	v_cndmask_b32_e64 v14, 0, 1, vcc_lo
	v_cmp_gt_i32_e32 vcc_lo, 31, v18
	s_delay_alu instid0(VALU_DEP_2)
	v_or_b32_e32 v14, v15, v14
	s_wait_alu 0xfffd
	v_cndmask_b32_e32 v6, 0x7c00, v6, vcc_lo
	v_cmp_eq_u32_e32 vcc_lo, 0x40f, v18
	v_lshl_or_b32 v15, v17, 12, v0
	s_wait_alu 0xfffd
	s_delay_alu instid0(VALU_DEP_3)
	v_cndmask_b32_e32 v6, v6, v8, vcc_lo
	v_lshrrev_b32_e32 v8, 16, v9
	v_fma_f16 v9, v61, v19, -v10
	v_cmp_gt_i32_e32 vcc_lo, 1, v17
	v_mul_f64_e32 v[4:5], s[8:9], v[4:5]
	v_lshrrev_b32_e32 v19, 8, v3
	v_lshrrev_b32_e32 v3, 16, v3
	s_wait_alu 0xfffd
	v_dual_cndmask_b32 v10, v15, v14 :: v_dual_and_b32 v15, 0xffff, v7
	v_and_or_b32 v14, 0x8000, v8, v6
	v_cvt_f32_f16_e32 v6, v9
	v_cmp_ne_u32_e32 vcc_lo, 0, v2
	s_delay_alu instid0(VALU_DEP_4)
	v_and_b32_e32 v18, 7, v10
	v_lshrrev_b32_e32 v10, 2, v10
	v_lshl_or_b32 v14, v14, 16, v15
	v_cvt_f64_f32_e32 v[6:7], v6
	s_wait_alu 0xfffd
	v_cndmask_b32_e64 v2, 0, 1, vcc_lo
	v_add_co_u32 v8, vcc_lo, v12, s2
	v_sub_nc_u32_e32 v12, 0x3f1, v20
	s_wait_alu 0xfffd
	v_add_co_ci_u32_e32 v9, vcc_lo, s3, v13, vcc_lo
	v_and_or_b32 v2, 0xffe, v19, v2
	v_cmp_lt_i32_e32 vcc_lo, 5, v18
	v_cmp_eq_u32_e64 s0, 3, v18
	v_med3_i32 v18, v12, 0, 13
	v_add_co_u32 v12, s1, v8, s2
	v_or_b32_e32 v15, 0x1000, v2
	s_delay_alu instid0(VALU_DEP_4)
	s_or_b32 vcc_lo, s0, vcc_lo
	global_store_b32 v[8:9], v16, off
	s_wait_alu 0xfffe
	v_add_co_ci_u32_e32 v10, vcc_lo, 0, v10, vcc_lo
	v_lshrrev_b32_e32 v19, v18, v15
	v_cmp_gt_i32_e32 vcc_lo, 31, v17
	v_add_co_ci_u32_e64 v13, s1, s3, v9, s1
	s_delay_alu instid0(VALU_DEP_3)
	v_lshlrev_b32_e32 v8, v18, v19
	s_wait_alu 0xfffd
	v_cndmask_b32_e32 v10, 0x7c00, v10, vcc_lo
	global_store_b32 v[12:13], v14, off
	v_lshrrev_b32_e32 v14, 16, v11
	v_and_or_b32 v4, 0x1ff, v5, v4
	v_cmp_ne_u32_e32 vcc_lo, v8, v15
	v_add_nc_u32_e32 v15, 0xfffffc10, v20
	v_lshrrev_b32_e32 v18, 8, v5
	v_mul_f16_e32 v9, v62, v14
	s_wait_alu 0xfffd
	v_cndmask_b32_e64 v8, 0, 1, vcc_lo
	v_cmp_ne_u32_e32 vcc_lo, 0, v0
	v_lshl_or_b32 v16, v15, 12, v2
	v_fmac_f16_e32 v9, v59, v11
	v_mul_f16_e32 v11, v62, v11
	v_or_b32_e32 v8, v19, v8
	s_wait_alu 0xfffd
	v_cndmask_b32_e64 v0, 0, 1, vcc_lo
	v_cmp_gt_i32_e32 vcc_lo, 1, v15
	v_mul_f64_e32 v[6:7], s[8:9], v[6:7]
	v_bfe_u32 v19, v5, 20, 11
	v_fma_f16 v11, v59, v14, -v11
	v_lshl_or_b32 v0, v0, 9, 0x7c00
	s_wait_alu 0xfffd
	v_cndmask_b32_e32 v16, v16, v8, vcc_lo
	v_cmp_ne_u32_e32 vcc_lo, 0, v4
	v_cvt_f32_f16_e32 v8, v9
	v_lshrrev_b32_e32 v14, 16, v1
	v_cvt_f32_f16_e32 v11, v11
	v_and_b32_e32 v20, 7, v16
	s_wait_alu 0xfffd
	v_cndmask_b32_e64 v4, 0, 1, vcc_lo
	v_cmp_eq_u32_e32 vcc_lo, 0x40f, v17
	v_cvt_f64_f32_e32 v[8:9], v8
	v_lshrrev_b32_e32 v1, 2, v16
	v_cmp_eq_u32_e64 s0, 3, v20
	v_and_or_b32 v4, 0xffe, v18, v4
	v_sub_nc_u32_e32 v18, 0x3f1, v19
	s_wait_alu 0xfffd
	v_cndmask_b32_e32 v17, v10, v0, vcc_lo
	v_cmp_lt_i32_e32 vcc_lo, 5, v20
	v_or_b32_e32 v10, 0x1000, v4
	v_med3_i32 v0, v18, 0, 13
	s_delay_alu instid0(VALU_DEP_4)
	v_and_or_b32 v14, 0x8000, v14, v17
	s_or_b32 vcc_lo, s0, vcc_lo
	s_wait_alu 0xfffe
	v_add_co_ci_u32_e32 v18, vcc_lo, 0, v1, vcc_lo
	v_lshrrev_b32_e32 v16, v0, v10
	v_cmp_ne_u32_e32 vcc_lo, 0, v2
	s_delay_alu instid0(VALU_DEP_2) | instskip(SKIP_4) | instid1(VALU_DEP_3)
	v_lshlrev_b32_e32 v20, v0, v16
	s_wait_alu 0xfffd
	v_cndmask_b32_e64 v2, 0, 1, vcc_lo
	v_cmp_gt_i32_e32 vcc_lo, 31, v15
	v_cvt_f64_f32_e32 v[0:1], v11
	v_lshl_or_b32 v2, v2, 9, 0x7c00
	s_wait_alu 0xfffd
	v_cndmask_b32_e32 v11, 0x7c00, v18, vcc_lo
	v_cmp_ne_u32_e32 vcc_lo, v20, v10
	v_and_or_b32 v6, 0x1ff, v7, v6
	v_add_nc_u32_e32 v18, 0xfffffc10, v19
	v_lshrrev_b32_e32 v19, 8, v7
	v_bfe_u32 v20, v7, 20, 11
	s_wait_alu 0xfffd
	v_cndmask_b32_e64 v10, 0, 1, vcc_lo
	v_cmp_eq_u32_e32 vcc_lo, 0x40f, v15
	v_lshrrev_b32_e32 v7, 16, v7
	s_delay_alu instid0(VALU_DEP_3)
	v_or_b32_e32 v15, v16, v10
	s_wait_alu 0xfffd
	v_cndmask_b32_e32 v2, v11, v2, vcc_lo
	v_cmp_ne_u32_e32 vcc_lo, 0, v6
	v_lshl_or_b32 v16, v18, 12, v4
	v_mul_f64_e32 v[8:9], s[8:9], v[8:9]
	ds_load_2addr_b32 v[10:11], v48 offset0:136 offset1:153
	v_and_or_b32 v2, 0x8000, v3, v2
	s_wait_alu 0xfffd
	v_cndmask_b32_e64 v6, 0, 1, vcc_lo
	v_cmp_gt_i32_e32 vcc_lo, 1, v18
	v_and_b32_e32 v3, 0xffff, v14
	s_delay_alu instid0(VALU_DEP_3) | instskip(SKIP_3) | instid1(VALU_DEP_3)
	v_and_or_b32 v6, 0xffe, v19, v6
	s_wait_alu 0xfffd
	v_cndmask_b32_e32 v15, v16, v15, vcc_lo
	v_sub_nc_u32_e32 v16, 0x3f1, v20
	v_or_b32_e32 v14, 0x1000, v6
	s_delay_alu instid0(VALU_DEP_3) | instskip(NEXT) | instid1(VALU_DEP_3)
	v_and_b32_e32 v17, 7, v15
	v_med3_i32 v16, v16, 0, 13
	s_delay_alu instid0(VALU_DEP_2)
	v_cmp_lt_i32_e32 vcc_lo, 5, v17
	v_cmp_eq_u32_e64 s0, 3, v17
	v_lshl_or_b32 v17, v2, 16, v3
	v_lshrrev_b32_e32 v2, 2, v15
	v_lshrrev_b32_e32 v15, v16, v14
	s_wait_dscnt 0x0
	v_lshrrev_b32_e32 v19, 16, v10
	s_or_b32 vcc_lo, s0, vcc_lo
	v_mul_f64_e32 v[0:1], s[8:9], v[0:1]
	s_wait_alu 0xfffe
	v_add_co_ci_u32_e32 v21, vcc_lo, 0, v2, vcc_lo
	v_add_co_u32 v2, vcc_lo, v12, s2
	s_wait_alu 0xfffd
	v_add_co_ci_u32_e32 v3, vcc_lo, s3, v13, vcc_lo
	v_lshlrev_b32_e32 v16, v16, v15
	v_cmp_gt_i32_e32 vcc_lo, 31, v18
	v_mul_f16_e32 v22, v60, v19
	global_store_b32 v[2:3], v17, off
	v_add_co_u32 v2, s1, v2, s2
	s_wait_alu 0xfffd
	v_cndmask_b32_e32 v21, 0x7c00, v21, vcc_lo
	v_cmp_ne_u32_e32 vcc_lo, v16, v14
	v_add_nc_u32_e32 v14, 0xfffffc10, v20
	v_fmac_f16_e32 v22, v57, v10
	v_and_or_b32 v8, 0x1ff, v9, v8
	v_bfe_u32 v20, v9, 20, 11
	s_wait_alu 0xfffd
	v_cndmask_b32_e64 v12, 0, 1, vcc_lo
	v_cmp_ne_u32_e32 vcc_lo, 0, v4
	v_lshl_or_b32 v16, v14, 12, v6
	v_cvt_f32_f16_e32 v13, v22
	s_wait_alu 0xf1ff
	v_add_co_ci_u32_e64 v3, s1, s3, v3, s1
	s_wait_alu 0xfffd
	v_cndmask_b32_e64 v4, 0, 1, vcc_lo
	v_or_b32_e32 v15, v15, v12
	v_cmp_gt_i32_e32 vcc_lo, 1, v14
	v_cvt_f64_f32_e32 v[12:13], v13
	s_delay_alu instid0(VALU_DEP_4)
	v_lshl_or_b32 v4, v4, 9, 0x7c00
	s_wait_alu 0xfffd
	v_cndmask_b32_e32 v15, v16, v15, vcc_lo
	v_cmp_ne_u32_e32 vcc_lo, 0, v8
	v_lshrrev_b32_e32 v16, 8, v9
	v_lshrrev_b32_e32 v9, 16, v9
	s_delay_alu instid0(VALU_DEP_4)
	v_and_b32_e32 v22, 7, v15
	s_wait_alu 0xfffd
	v_cndmask_b32_e64 v8, 0, 1, vcc_lo
	v_cmp_eq_u32_e32 vcc_lo, 0x40f, v18
	v_lshrrev_b32_e32 v15, 2, v15
	v_and_or_b32 v0, 0x1ff, v1, v0
	v_cmp_eq_u32_e64 s0, 3, v22
	v_and_or_b32 v8, 0xffe, v16, v8
	s_wait_alu 0xfffd
	v_cndmask_b32_e32 v18, v21, v4, vcc_lo
	v_sub_nc_u32_e32 v4, 0x3f1, v20
	v_cmp_lt_i32_e32 vcc_lo, 5, v22
	v_lshrrev_b32_e32 v21, 16, v5
	v_or_b32_e32 v16, 0x1000, v8
	v_mul_f16_e32 v5, v60, v10
	v_med3_i32 v4, v4, 0, 13
	s_or_b32 vcc_lo, s0, vcc_lo
	v_lshrrev_b32_e32 v10, 8, v1
	s_wait_alu 0xfffe
	v_add_co_ci_u32_e32 v15, vcc_lo, 0, v15, vcc_lo
	v_lshrrev_b32_e32 v22, v4, v16
	v_cmp_ne_u32_e32 vcc_lo, 0, v6
	v_fma_f16 v5, v57, v19, -v5
	v_bfe_u32 v19, v1, 20, 11
	v_add_nc_u32_e32 v20, 0xfffffc10, v20
	v_lshlrev_b32_e32 v4, v4, v22
	s_wait_alu 0xfffd
	v_cndmask_b32_e64 v6, 0, 1, vcc_lo
	v_cmp_ne_u32_e32 vcc_lo, 0, v0
	v_sub_nc_u32_e32 v23, 0x3f1, v19
	s_delay_alu instid0(VALU_DEP_3) | instskip(SKIP_4) | instid1(VALU_DEP_3)
	v_lshl_or_b32 v6, v6, 9, 0x7c00
	s_wait_alu 0xfffd
	v_cndmask_b32_e64 v0, 0, 1, vcc_lo
	v_cmp_ne_u32_e32 vcc_lo, v4, v16
	v_med3_i32 v23, v23, 0, 13
	v_and_or_b32 v0, 0xffe, v10, v0
	s_wait_alu 0xfffd
	v_cndmask_b32_e64 v16, 0, 1, vcc_lo
	v_cvt_f32_f16_e32 v10, v5
	v_cmp_gt_i32_e32 vcc_lo, 31, v14
	v_mul_f64_e32 v[4:5], s[8:9], v[12:13]
	s_delay_alu instid0(VALU_DEP_4)
	v_or_b32_e32 v16, v22, v16
	v_lshl_or_b32 v22, v20, 12, v8
	v_cvt_f64_f32_e32 v[12:13], v10
	v_or_b32_e32 v10, 0x1000, v0
	s_wait_alu 0xfffd
	v_cndmask_b32_e32 v15, 0x7c00, v15, vcc_lo
	v_cmp_gt_i32_e32 vcc_lo, 1, v20
	s_wait_alu 0xfffd
	v_cndmask_b32_e32 v16, v22, v16, vcc_lo
	v_lshrrev_b32_e32 v22, v23, v10
	v_cmp_eq_u32_e32 vcc_lo, 0x40f, v14
	s_delay_alu instid0(VALU_DEP_3)
	v_and_b32_e32 v14, 7, v16
	s_wait_alu 0xfffd
	v_cndmask_b32_e32 v6, v15, v6, vcc_lo
	v_lshlrev_b32_e32 v15, v23, v22
	v_and_or_b32 v17, 0x8000, v21, v18
	v_cmp_lt_i32_e32 vcc_lo, 5, v14
	v_lshrrev_b32_e32 v18, 16, v11
	v_and_or_b32 v6, 0x8000, v7, v6
	v_cmp_ne_u32_e64 s0, v15, v10
	v_lshrrev_b32_e32 v15, 2, v16
	v_add_nc_u32_e32 v10, 0xfffffc10, v19
	s_wait_alu 0xf1ff
	s_delay_alu instid0(VALU_DEP_3) | instskip(SKIP_3) | instid1(VALU_DEP_4)
	v_cndmask_b32_e64 v7, 0, 1, s0
	v_cmp_eq_u32_e64 s0, 3, v14
	v_and_b32_e32 v14, 0xffff, v17
	v_lshl_or_b32 v16, v10, 12, v0
	v_or_b32_e32 v7, v22, v7
	s_delay_alu instid0(VALU_DEP_4) | instskip(NEXT) | instid1(VALU_DEP_3)
	s_or_b32 vcc_lo, s0, vcc_lo
	v_lshl_or_b32 v17, v6, 16, v14
	s_wait_alu 0xfffe
	v_add_co_ci_u32_e32 v15, vcc_lo, 0, v15, vcc_lo
	v_cmp_gt_i32_e32 vcc_lo, 1, v10
	v_and_or_b32 v4, 0x1ff, v5, v4
	v_bfe_u32 v19, v5, 20, 11
	s_wait_alu 0xfffd
	v_cndmask_b32_e32 v14, v16, v7, vcc_lo
	v_cmp_gt_i32_e32 vcc_lo, 31, v20
	v_mul_f64_e32 v[6:7], s[8:9], v[12:13]
	v_lshrrev_b32_e32 v12, 8, v5
	v_mul_f16_e32 v13, v58, v18
	s_wait_alu 0xfffd
	v_dual_cndmask_b32 v15, 0x7c00, v15 :: v_dual_and_b32 v16, 7, v14
	v_cmp_ne_u32_e32 vcc_lo, 0, v8
	v_lshrrev_b32_e32 v14, 2, v14
	v_fmac_f16_e32 v13, v55, v11
	s_delay_alu instid0(VALU_DEP_4) | instskip(SKIP_4) | instid1(VALU_DEP_3)
	v_cmp_eq_u32_e64 s0, 3, v16
	v_mul_f16_e32 v11, v58, v11
	s_wait_alu 0xfffd
	v_cndmask_b32_e64 v8, 0, 1, vcc_lo
	v_cmp_ne_u32_e32 vcc_lo, 0, v4
	v_fma_f16 v11, v55, v18, -v11
	s_delay_alu instid0(VALU_DEP_3) | instskip(SKIP_3) | instid1(VALU_DEP_2)
	v_lshl_or_b32 v8, v8, 9, 0x7c00
	s_wait_alu 0xfffd
	v_cndmask_b32_e64 v4, 0, 1, vcc_lo
	v_cmp_lt_i32_e32 vcc_lo, 5, v16
	v_and_or_b32 v4, 0xffe, v12, v4
	s_or_b32 vcc_lo, s0, vcc_lo
	v_sub_nc_u32_e32 v12, 0x3f1, v19
	s_wait_alu 0xfffe
	v_add_co_ci_u32_e32 v14, vcc_lo, 0, v14, vcc_lo
	v_cmp_ne_u32_e32 vcc_lo, 0, v0
	v_or_b32_e32 v16, 0x1000, v4
	v_med3_i32 v21, v12, 0, 13
	v_cvt_f32_f16_e32 v12, v13
	s_wait_alu 0xfffd
	v_cndmask_b32_e64 v0, 0, 1, vcc_lo
	v_cmp_eq_u32_e32 vcc_lo, 0x40f, v20
	v_lshrrev_b32_e32 v22, v21, v16
	v_cvt_f64_f32_e32 v[12:13], v12
	s_delay_alu instid0(VALU_DEP_4)
	v_lshl_or_b32 v0, v0, 9, 0x7c00
	s_wait_alu 0xfffd
	v_cndmask_b32_e32 v8, v15, v8, vcc_lo
	v_cmp_gt_i32_e32 vcc_lo, 31, v10
	v_lshlrev_b32_e32 v15, v21, v22
	v_and_or_b32 v6, 0x1ff, v7, v6
	s_delay_alu instid0(VALU_DEP_4) | instskip(SKIP_4) | instid1(VALU_DEP_2)
	v_and_or_b32 v8, 0x8000, v9, v8
	s_wait_alu 0xfffd
	v_cndmask_b32_e32 v14, 0x7c00, v14, vcc_lo
	v_cmp_eq_u32_e32 vcc_lo, 0x40f, v10
	s_wait_alu 0xfffd
	v_cndmask_b32_e32 v10, v14, v0, vcc_lo
	v_cmp_ne_u32_e32 vcc_lo, v15, v16
	v_add_nc_u32_e32 v14, 0xfffffc10, v19
	v_lshrrev_b32_e32 v15, 16, v1
	v_bfe_u32 v19, v7, 20, 11
	s_wait_alu 0xfffd
	v_cndmask_b32_e64 v0, 0, 1, vcc_lo
	v_cmp_ne_u32_e32 vcc_lo, 0, v6
	v_lshl_or_b32 v18, v14, 12, v4
	v_sub_nc_u32_e32 v9, 0x3f1, v19
	v_and_or_b32 v15, 0x8000, v15, v10
	v_or_b32_e32 v16, v22, v0
	v_cvt_f32_f16_e32 v0, v11
	s_wait_alu 0xfffd
	v_cndmask_b32_e64 v6, 0, 1, vcc_lo
	v_cmp_gt_i32_e32 vcc_lo, 1, v14
	v_lshrrev_b32_e32 v11, 8, v7
	v_med3_i32 v21, v9, 0, 13
	v_cvt_f64_f32_e32 v[0:1], v0
	v_lshrrev_b32_e32 v7, 16, v7
	s_wait_alu 0xfffd
	v_cndmask_b32_e32 v16, v18, v16, vcc_lo
	v_and_or_b32 v6, 0xffe, v11, v6
	v_and_b32_e32 v18, 0xffff, v8
	ds_load_2addr_b32 v[8:9], v48 offset0:170 offset1:187
	v_and_b32_e32 v10, 7, v16
	v_or_b32_e32 v20, 0x1000, v6
	s_delay_alu instid0(VALU_DEP_2)
	v_cmp_lt_i32_e32 vcc_lo, 5, v10
	v_cmp_eq_u32_e64 s0, 3, v10
	v_mul_f64_e32 v[10:11], s[8:9], v[12:13]
	v_lshrrev_b32_e32 v13, 2, v16
	v_lshrrev_b32_e32 v12, v21, v20
	v_lshl_or_b32 v16, v15, 16, v18
	s_or_b32 vcc_lo, s0, vcc_lo
	v_add_nc_u32_e32 v18, 0xfffffc10, v19
	s_wait_alu 0xfffe
	v_add_co_ci_u32_e32 v13, vcc_lo, 0, v13, vcc_lo
	v_lshlrev_b32_e32 v15, v21, v12
	v_cmp_ne_u32_e32 vcc_lo, 0, v4
	s_wait_dscnt 0x0
	v_lshrrev_b32_e32 v19, 16, v8
	s_wait_alu 0xfffd
	v_cndmask_b32_e64 v4, 0, 1, vcc_lo
	v_cmp_ne_u32_e32 vcc_lo, v15, v20
	s_delay_alu instid0(VALU_DEP_3) | instskip(NEXT) | instid1(VALU_DEP_3)
	v_mul_f16_e32 v20, v56, v19
	v_lshl_or_b32 v4, v4, 9, 0x7c00
	s_wait_alu 0xfffd
	v_cndmask_b32_e64 v15, 0, 1, vcc_lo
	v_cmp_gt_i32_e32 vcc_lo, 31, v14
	v_fmac_f16_e32 v20, v54, v8
	v_mul_f16_e32 v8, v56, v8
	v_mul_f64_e32 v[0:1], s[8:9], v[0:1]
	v_or_b32_e32 v12, v12, v15
	s_wait_alu 0xfffd
	v_cndmask_b32_e32 v13, 0x7c00, v13, vcc_lo
	v_lshl_or_b32 v15, v18, 12, v6
	v_cmp_gt_i32_e32 vcc_lo, 1, v18
	v_cvt_f32_f16_e32 v20, v20
	v_fma_f16 v8, v54, v19, -v8
	s_wait_alu 0xfffd
	v_cndmask_b32_e32 v15, v15, v12, vcc_lo
	v_cmp_eq_u32_e32 vcc_lo, 0x40f, v14
	s_delay_alu instid0(VALU_DEP_3)
	v_cvt_f32_f16_e32 v8, v8
	v_and_or_b32 v10, 0x1ff, v11, v10
	s_wait_alu 0xfffd
	v_cndmask_b32_e32 v12, v13, v4, vcc_lo
	v_lshrrev_b32_e32 v13, 16, v5
	v_and_b32_e32 v14, 7, v15
	v_add_co_u32 v4, vcc_lo, v2, s2
	v_cmp_ne_u32_e64 s1, 0, v10
	s_delay_alu instid0(VALU_DEP_4)
	v_and_or_b32 v21, 0x8000, v13, v12
	v_cvt_f64_f32_e32 v[12:13], v20
	s_wait_alu 0xfffd
	v_add_co_ci_u32_e32 v5, vcc_lo, s3, v3, vcc_lo
	v_cmp_lt_i32_e32 vcc_lo, 5, v14
	v_cmp_eq_u32_e64 s0, 3, v14
	v_lshrrev_b32_e32 v14, 2, v15
	s_wait_alu 0xf1ff
	v_cndmask_b32_e64 v10, 0, 1, s1
	v_lshrrev_b32_e32 v15, 8, v11
	v_bfe_u32 v20, v11, 20, 11
	s_or_b32 vcc_lo, s0, vcc_lo
	global_store_b32 v[2:3], v17, off
	global_store_b32 v[4:5], v16, off
	s_wait_alu 0xfffe
	v_add_co_ci_u32_e32 v14, vcc_lo, 0, v14, vcc_lo
	v_and_or_b32 v10, 0xffe, v15, v10
	v_sub_nc_u32_e32 v15, 0x3f1, v20
	v_cmp_ne_u32_e32 vcc_lo, 0, v6
	v_and_or_b32 v0, 0x1ff, v1, v0
	v_bfe_u32 v23, v1, 20, 11
	v_or_b32_e32 v22, 0x1000, v10
	v_med3_i32 v15, v15, 0, 13
	s_wait_alu 0xfffd
	v_cndmask_b32_e64 v6, 0, 1, vcc_lo
	v_cmp_gt_i32_e32 vcc_lo, 31, v18
	v_add_nc_u32_e32 v20, 0xfffffc10, v20
	v_add_nc_u32_e32 v17, 0xfffffc10, v23
	v_lshrrev_b32_e32 v19, v15, v22
	v_lshl_or_b32 v6, v6, 9, 0x7c00
	s_wait_alu 0xfffd
	v_cndmask_b32_e32 v14, 0x7c00, v14, vcc_lo
	v_cmp_eq_u32_e32 vcc_lo, 0x40f, v18
	v_lshrrev_b32_e32 v11, 16, v11
	v_lshlrev_b32_e32 v18, v15, v19
	s_wait_alu 0xfffd
	v_cndmask_b32_e32 v6, v14, v6, vcc_lo
	v_cmp_ne_u32_e32 vcc_lo, 0, v0
	v_cvt_f64_f32_e32 v[14:15], v8
	v_lshrrev_b32_e32 v8, 8, v1
	s_delay_alu instid0(VALU_DEP_4)
	v_and_or_b32 v6, 0x8000, v7, v6
	s_wait_alu 0xfffd
	v_cndmask_b32_e64 v0, 0, 1, vcc_lo
	v_cmp_ne_u32_e32 vcc_lo, v18, v22
	v_mul_f64_e32 v[12:13], s[8:9], v[12:13]
	v_and_b32_e32 v7, 0xffff, v21
	s_delay_alu instid0(VALU_DEP_4)
	v_and_or_b32 v0, 0xffe, v8, v0
	s_wait_alu 0xfffd
	v_cndmask_b32_e64 v18, 0, 1, vcc_lo
	v_sub_nc_u32_e32 v8, 0x3f1, v23
	v_cmp_gt_i32_e32 vcc_lo, 1, v20
	v_lshl_or_b32 v16, v6, 16, v7
	v_or_b32_e32 v22, 0x1000, v0
	v_or_b32_e32 v18, v19, v18
	v_lshl_or_b32 v19, v20, 12, v10
	v_med3_i32 v8, v8, 0, 13
	s_wait_alu 0xfffd
	s_delay_alu instid0(VALU_DEP_2) | instskip(NEXT) | instid1(VALU_DEP_2)
	v_cndmask_b32_e32 v18, v19, v18, vcc_lo
	v_lshrrev_b32_e32 v19, v8, v22
	v_add_co_u32 v2, vcc_lo, v4, s2
	s_wait_alu 0xfffd
	v_add_co_ci_u32_e32 v3, vcc_lo, s3, v5, vcc_lo
	s_delay_alu instid0(VALU_DEP_3)
	v_lshlrev_b32_e32 v7, v8, v19
	v_and_b32_e32 v6, 7, v18
	v_lshrrev_b32_e32 v8, 16, v9
	global_store_b32 v[2:3], v16, off
	v_cmp_ne_u32_e64 s0, v7, v22
	v_cmp_lt_i32_e32 vcc_lo, 5, v6
	v_lshrrev_b32_e32 v7, 2, v18
	s_wait_alu 0xf1ff
	s_delay_alu instid0(VALU_DEP_3) | instskip(SKIP_2) | instid1(VALU_DEP_3)
	v_cndmask_b32_e64 v4, 0, 1, s0
	v_cmp_eq_u32_e64 s0, 3, v6
	v_mul_f16_e32 v6, v53, v8
	v_or_b32_e32 v18, v19, v4
	s_delay_alu instid0(VALU_DEP_3)
	s_or_b32 vcc_lo, s0, vcc_lo
	v_lshl_or_b32 v19, v17, 12, v0
	s_wait_alu 0xfffe
	v_add_co_ci_u32_e32 v7, vcc_lo, 0, v7, vcc_lo
	v_cmp_gt_i32_e32 vcc_lo, 1, v17
	v_mul_f64_e32 v[4:5], s[8:9], v[14:15]
	v_and_or_b32 v12, 0x1ff, v13, v12
	v_fmac_f16_e32 v6, v52, v9
	v_bfe_u32 v21, v13, 20, 11
	s_wait_alu 0xfffd
	v_cndmask_b32_e32 v14, v19, v18, vcc_lo
	v_cmp_gt_i32_e32 vcc_lo, 31, v20
	v_lshrrev_b32_e32 v19, 8, v13
	v_cvt_f32_f16_e32 v6, v6
	v_mul_f16_e32 v9, v53, v9
	s_wait_alu 0xfffd
	v_dual_cndmask_b32 v15, 0x7c00, v7 :: v_dual_and_b32 v18, 7, v14
	v_cmp_ne_u32_e32 vcc_lo, 0, v12
	v_cvt_f64_f32_e32 v[6:7], v6
	v_lshrrev_b32_e32 v14, 2, v14
	s_delay_alu instid0(VALU_DEP_4)
	v_cmp_eq_u32_e64 s0, 3, v18
	v_fma_f16 v8, v52, v8, -v9
	s_wait_alu 0xfffd
	v_cndmask_b32_e64 v12, 0, 1, vcc_lo
	v_cmp_ne_u32_e32 vcc_lo, 0, v10
	v_lshrrev_b32_e32 v13, 16, v13
	v_cvt_f32_f16_e32 v8, v8
	s_delay_alu instid0(VALU_DEP_4)
	v_and_or_b32 v12, 0xffe, v19, v12
	s_wait_alu 0xfffd
	v_cndmask_b32_e64 v10, 0, 1, vcc_lo
	v_cmp_lt_i32_e32 vcc_lo, 5, v18
	v_sub_nc_u32_e32 v19, 0x3f1, v21
	v_add_nc_u32_e32 v21, 0xfffffc10, v21
	v_or_b32_e32 v18, 0x1000, v12
	v_lshl_or_b32 v10, v10, 9, 0x7c00
	s_or_b32 vcc_lo, s0, vcc_lo
	v_med3_i32 v19, v19, 0, 13
	s_wait_alu 0xfffe
	v_add_co_ci_u32_e32 v14, vcc_lo, 0, v14, vcc_lo
	v_cmp_eq_u32_e32 vcc_lo, 0x40f, v20
	v_cvt_f64_f32_e32 v[8:9], v8
	s_wait_alu 0xfffd
	v_cndmask_b32_e32 v10, v15, v10, vcc_lo
	v_lshrrev_b32_e32 v15, v19, v18
	v_cmp_gt_i32_e32 vcc_lo, 31, v17
	v_and_or_b32 v4, 0x1ff, v5, v4
	v_bfe_u32 v20, v5, 20, 11
	v_and_or_b32 v10, 0x8000, v11, v10
	s_wait_alu 0xfffd
	v_dual_cndmask_b32 v14, 0x7c00, v14 :: v_dual_lshlrev_b32 v19, v19, v15
	v_cmp_ne_u32_e32 vcc_lo, 0, v0
	s_wait_alu 0xfffd
	v_cndmask_b32_e64 v0, 0, 1, vcc_lo
	s_delay_alu instid0(VALU_DEP_3) | instskip(SKIP_2) | instid1(VALU_DEP_4)
	v_cmp_ne_u32_e32 vcc_lo, v19, v18
	v_lshrrev_b32_e32 v19, 8, v5
	v_mul_f64_e32 v[6:7], s[8:9], v[6:7]
	v_lshl_or_b32 v0, v0, 9, 0x7c00
	s_wait_alu 0xfffd
	v_cndmask_b32_e64 v18, 0, 1, vcc_lo
	v_cmp_ne_u32_e32 vcc_lo, 0, v4
	s_delay_alu instid0(VALU_DEP_2)
	v_or_b32_e32 v15, v15, v18
	s_wait_alu 0xfffd
	v_cndmask_b32_e64 v4, 0, 1, vcc_lo
	v_cmp_eq_u32_e32 vcc_lo, 0x40f, v17
	v_lshl_or_b32 v18, v21, 12, v12
	v_lshrrev_b32_e32 v17, 16, v1
	s_delay_alu instid0(VALU_DEP_4)
	v_and_or_b32 v4, 0xffe, v19, v4
	v_sub_nc_u32_e32 v19, 0x3f1, v20
	s_wait_alu 0xfffd
	v_cndmask_b32_e32 v14, v14, v0, vcc_lo
	v_cmp_gt_i32_e32 vcc_lo, 1, v21
	ds_load_2addr_b32 v[0:1], v48 offset0:204 offset1:221
	v_or_b32_e32 v22, 0x1000, v4
	v_med3_i32 v19, v19, 0, 13
	v_and_or_b32 v14, 0x8000, v17, v14
	s_wait_alu 0xfffd
	v_cndmask_b32_e32 v15, v18, v15, vcc_lo
	v_and_b32_e32 v17, 0xffff, v10
	v_mul_f64_e32 v[8:9], s[8:9], v[8:9]
	v_lshrrev_b32_e32 v18, v19, v22
	s_delay_alu instid0(VALU_DEP_4) | instskip(SKIP_2) | instid1(VALU_DEP_4)
	v_and_b32_e32 v11, 7, v15
	v_lshrrev_b32_e32 v10, 2, v15
	v_add_nc_u32_e32 v15, 0xfffffc10, v20
	v_lshlrev_b32_e32 v16, v19, v18
	v_lshl_or_b32 v17, v14, 16, v17
	v_cmp_lt_i32_e32 vcc_lo, 5, v11
	v_cmp_eq_u32_e64 s0, 3, v11
	s_delay_alu instid0(VALU_DEP_4) | instskip(SKIP_1) | instid1(VALU_DEP_3)
	v_cmp_ne_u32_e64 s1, v16, v22
	v_lshl_or_b32 v16, v15, 12, v4
	s_or_b32 vcc_lo, s0, vcc_lo
	v_and_or_b32 v6, 0x1ff, v7, v6
	s_wait_alu 0xfffe
	v_add_co_ci_u32_e32 v10, vcc_lo, 0, v10, vcc_lo
	v_cndmask_b32_e64 v11, 0, 1, s1
	v_cmp_ne_u32_e32 vcc_lo, 0, v12
	v_lshrrev_b32_e32 v20, 8, v7
	v_bfe_u32 v22, v7, 20, 11
	v_cmp_eq_u32_e64 s1, 0x40f, v21
	v_or_b32_e32 v11, v18, v11
	s_wait_alu 0xfffd
	v_cndmask_b32_e64 v12, 0, 1, vcc_lo
	s_wait_dscnt 0x0
	v_lshrrev_b32_e32 v18, 16, v0
	v_cmp_gt_i32_e32 vcc_lo, 1, v15
	v_lshrrev_b32_e32 v7, 16, v7
	v_lshl_or_b32 v12, v12, 9, 0x7c00
	s_wait_alu 0xfffd
	v_cndmask_b32_e32 v16, v16, v11, vcc_lo
	v_mul_f16_e32 v11, v51, v18
	v_cmp_gt_i32_e32 vcc_lo, 31, v21
	s_delay_alu instid0(VALU_DEP_2)
	v_fmac_f16_e32 v11, v50, v0
	s_wait_alu 0xfffd
	v_cndmask_b32_e32 v19, 0x7c00, v10, vcc_lo
	v_cmp_ne_u32_e32 vcc_lo, 0, v6
	v_and_b32_e32 v10, 7, v16
	v_lshrrev_b32_e32 v16, 2, v16
	v_cvt_f32_f16_e32 v11, v11
	s_wait_alu 0xf1ff
	v_cndmask_b32_e64 v12, v19, v12, s1
	s_wait_alu 0xfffd
	v_cndmask_b32_e64 v6, 0, 1, vcc_lo
	v_cmp_lt_i32_e32 vcc_lo, 5, v10
	v_cmp_eq_u32_e64 s0, 3, v10
	v_cvt_f64_f32_e32 v[10:11], v11
	v_mul_f16_e32 v0, v51, v0
	v_and_or_b32 v6, 0xffe, v20, v6
	v_sub_nc_u32_e32 v20, 0x3f1, v22
	s_or_b32 vcc_lo, s0, vcc_lo
	v_and_or_b32 v23, 0x8000, v13, v12
	s_wait_alu 0xfffe
	v_add_co_ci_u32_e32 v16, vcc_lo, 0, v16, vcc_lo
	v_or_b32_e32 v19, 0x1000, v6
	v_med3_i32 v20, v20, 0, 13
	v_cmp_ne_u32_e32 vcc_lo, 0, v4
	v_fma_f16 v0, v50, v18, -v0
	v_lshrrev_b32_e32 v18, 8, v9
	v_and_b32_e32 v14, 0xffff, v23
	v_lshrrev_b32_e32 v21, v20, v19
	s_wait_alu 0xfffd
	v_cndmask_b32_e64 v4, 0, 1, vcc_lo
	v_cmp_gt_i32_e32 vcc_lo, 31, v15
	v_cvt_f32_f16_e32 v0, v0
	v_lshlrev_b32_e32 v12, v20, v21
	s_delay_alu instid0(VALU_DEP_4)
	v_lshl_or_b32 v4, v4, 9, 0x7c00
	s_wait_alu 0xfffd
	v_cndmask_b32_e32 v16, 0x7c00, v16, vcc_lo
	v_cmp_eq_u32_e32 vcc_lo, 0x40f, v15
	v_lshrrev_b32_e32 v20, 16, v5
	s_wait_alu 0xfffd
	s_delay_alu instid0(VALU_DEP_3)
	v_cndmask_b32_e32 v15, v16, v4, vcc_lo
	v_and_or_b32 v4, 0x1ff, v9, v8
	v_cmp_ne_u32_e32 vcc_lo, v12, v19
	v_cvt_f64_f32_e32 v[12:13], v0
	v_add_nc_u32_e32 v16, 0xfffffc10, v22
	v_bfe_u32 v19, v9, 20, 11
	v_lshrrev_b32_e32 v22, 16, v1
	s_wait_alu 0xfffd
	v_cndmask_b32_e64 v8, 0, 1, vcc_lo
	v_cmp_ne_u32_e32 vcc_lo, 0, v4
	s_delay_alu instid0(VALU_DEP_2)
	v_or_b32_e32 v0, v21, v8
	s_wait_alu 0xfffd
	v_cndmask_b32_e64 v4, 0, 1, vcc_lo
	v_lshl_or_b32 v8, v16, 12, v6
	v_sub_nc_u32_e32 v21, 0x3f1, v19
	v_cmp_gt_i32_e32 vcc_lo, 1, v16
	v_add_nc_u32_e32 v19, 0xfffffc10, v19
	v_and_or_b32 v18, 0xffe, v18, v4
	v_mul_f64_e32 v[4:5], s[8:9], v[10:11]
	v_med3_i32 v10, v21, 0, 13
	s_wait_alu 0xfffd
	v_cndmask_b32_e32 v0, v8, v0, vcc_lo
	v_and_or_b32 v11, 0x8000, v20, v15
	v_or_b32_e32 v8, 0x1000, v18
	v_add_co_u32 v2, vcc_lo, v2, s2
	s_delay_alu instid0(VALU_DEP_4)
	v_and_b32_e32 v15, 7, v0
	s_wait_alu 0xfffd
	v_add_co_ci_u32_e32 v3, vcc_lo, s3, v3, vcc_lo
	v_lshrrev_b32_e32 v20, v10, v8
	v_lshrrev_b32_e32 v0, 2, v0
	v_cmp_lt_i32_e32 vcc_lo, 5, v15
	v_cmp_eq_u32_e64 s0, 3, v15
	v_lshl_or_b32 v21, v11, 16, v14
	v_lshlrev_b32_e32 v10, v10, v20
	v_mul_f16_e32 v14, v49, v22
	v_lshl_or_b32 v15, v19, 12, v18
	s_or_b32 vcc_lo, s0, vcc_lo
	s_delay_alu instid0(VALU_DEP_3)
	v_cmp_ne_u32_e64 s1, v10, v8
	s_wait_alu 0xfffe
	v_add_co_ci_u32_e32 v0, vcc_lo, 0, v0, vcc_lo
	v_cmp_ne_u32_e32 vcc_lo, 0, v6
	v_fmac_f16_e32 v14, v47, v1
	s_wait_alu 0xf1ff
	v_cndmask_b32_e64 v8, 0, 1, s1
	v_mul_f64_e32 v[10:11], s[8:9], v[12:13]
	s_wait_alu 0xfffd
	v_cndmask_b32_e64 v6, 0, 1, vcc_lo
	v_cmp_gt_i32_e32 vcc_lo, 1, v19
	v_or_b32_e32 v8, v20, v8
	v_cvt_f32_f16_e32 v12, v14
	s_delay_alu instid0(VALU_DEP_4) | instskip(SKIP_1) | instid1(VALU_DEP_3)
	v_lshl_or_b32 v6, v6, 9, 0x7c00
	s_wait_alu 0xfffd
	v_cndmask_b32_e32 v8, v15, v8, vcc_lo
	v_cmp_gt_i32_e32 vcc_lo, 31, v16
	v_cvt_f64_f32_e32 v[12:13], v12
	v_and_or_b32 v4, 0x1ff, v5, v4
	s_delay_alu instid0(VALU_DEP_4)
	v_and_b32_e32 v20, 7, v8
	s_wait_alu 0xfffd
	v_cndmask_b32_e32 v0, 0x7c00, v0, vcc_lo
	v_add_co_u32 v14, vcc_lo, v2, s2
	s_wait_alu 0xfffd
	v_add_co_ci_u32_e32 v15, vcc_lo, s3, v3, vcc_lo
	v_cmp_eq_u32_e32 vcc_lo, 0x40f, v16
	v_cmp_ne_u32_e64 s0, 0, v4
	v_lshrrev_b32_e32 v8, 2, v8
	v_bfe_u32 v16, v5, 20, 11
	s_wait_alu 0xfffd
	v_cndmask_b32_e32 v0, v0, v6, vcc_lo
	v_cmp_lt_i32_e32 vcc_lo, 5, v20
	s_wait_alu 0xf1ff
	v_cndmask_b32_e64 v4, 0, 1, s0
	v_cmp_eq_u32_e64 s0, 3, v20
	v_lshrrev_b32_e32 v6, 8, v5
	v_and_or_b32 v23, 0x8000, v7, v0
	v_mul_f16_e32 v7, v49, v1
	v_lshrrev_b32_e32 v5, 16, v5
	s_or_b32 vcc_lo, s0, vcc_lo
	v_and_or_b32 v4, 0xffe, v6, v4
	s_wait_alu 0xfffe
	v_add_co_ci_u32_e32 v8, vcc_lo, 0, v8, vcc_lo
	v_sub_nc_u32_e32 v6, 0x3f1, v16
	v_cmp_ne_u32_e32 vcc_lo, 0, v18
	v_or_b32_e32 v20, 0x1000, v4
	v_and_or_b32 v0, 0x1ff, v11, v10
	v_fma_f16 v7, v47, v22, -v7
	v_med3_i32 v6, v6, 0, 13
	s_wait_alu 0xfffd
	v_cndmask_b32_e64 v18, 0, 1, vcc_lo
	v_cmp_gt_i32_e32 vcc_lo, 31, v19
	v_add_nc_u32_e32 v16, 0xfffffc10, v16
	v_lshrrev_b32_e32 v24, v6, v20
	s_delay_alu instid0(VALU_DEP_4)
	v_lshl_or_b32 v18, v18, 9, 0x7c00
	s_wait_alu 0xfffd
	v_cndmask_b32_e32 v8, 0x7c00, v8, vcc_lo
	v_cmp_eq_u32_e32 vcc_lo, 0x40f, v19
	v_bfe_u32 v19, v11, 20, 11
	v_lshlrev_b32_e32 v6, v6, v24
	v_lshl_or_b32 v22, v16, 12, v4
	v_cmp_eq_u32_e64 s1, 0x40f, v16
	s_wait_alu 0xfffd
	v_cndmask_b32_e32 v10, v8, v18, vcc_lo
	v_cmp_ne_u32_e32 vcc_lo, 0, v0
	v_lshrrev_b32_e32 v18, 16, v9
	v_lshrrev_b32_e32 v9, 8, v11
	v_mul_f64_e32 v[0:1], s[8:9], v[12:13]
	v_sub_nc_u32_e32 v13, 0x3f1, v19
	s_wait_alu 0xfffd
	v_cndmask_b32_e64 v8, 0, 1, vcc_lo
	v_cmp_ne_u32_e32 vcc_lo, v6, v20
	v_and_or_b32 v10, 0x8000, v18, v10
	v_and_b32_e32 v18, 0xffff, v23
	v_med3_i32 v13, v13, 0, 13
	v_and_or_b32 v20, 0xffe, v9, v8
	s_wait_alu 0xfffd
	v_cndmask_b32_e64 v12, 0, 1, vcc_lo
	v_cvt_f32_f16_e32 v8, v7
	ds_load_2addr_b32 v[6:7], v48 offset0:238 offset1:255
	v_cmp_gt_i32_e32 vcc_lo, 1, v16
	global_store_b32 v[2:3], v17, off
	global_store_b32 v[14:15], v21, off
	v_or_b32_e32 v12, v24, v12
	v_or_b32_e32 v24, 0x1000, v20
	v_cvt_f64_f32_e32 v[8:9], v8
	v_lshl_or_b32 v17, v10, 16, v18
	v_lshrrev_b32_e32 v11, 16, v11
	s_wait_alu 0xfffd
	v_cndmask_b32_e32 v12, v22, v12, vcc_lo
	v_lshrrev_b32_e32 v22, v13, v24
	v_add_co_u32 v2, vcc_lo, v14, s2
	s_wait_alu 0xfffd
	v_add_co_ci_u32_e32 v3, vcc_lo, s3, v15, vcc_lo
	s_delay_alu instid0(VALU_DEP_3) | instskip(SKIP_2) | instid1(VALU_DEP_3)
	v_lshlrev_b32_e32 v13, v13, v22
	v_and_b32_e32 v10, 7, v12
	v_add_nc_u32_e32 v15, 0xfffffc10, v19
	v_cmp_ne_u32_e64 s0, v13, v24
	s_wait_dscnt 0x0
	v_lshrrev_b32_e32 v14, 16, v6
	v_cmp_lt_i32_e32 vcc_lo, 5, v10
	s_wait_alu 0xf1ff
	v_cndmask_b32_e64 v13, 0, 1, s0
	s_delay_alu instid0(VALU_DEP_3)
	v_mul_f16_e32 v18, v46, v14
	v_cmp_eq_u32_e64 s0, 3, v10
	v_lshrrev_b32_e32 v10, 2, v12
	v_and_or_b32 v0, 0x1ff, v1, v0
	v_or_b32_e32 v12, v22, v13
	v_fmac_f16_e32 v18, v45, v6
	s_or_b32 vcc_lo, s0, vcc_lo
	v_lshl_or_b32 v13, v15, 12, v20
	s_wait_alu 0xfffe
	v_add_co_ci_u32_e32 v10, vcc_lo, 0, v10, vcc_lo
	v_cmp_gt_i32_e32 vcc_lo, 1, v15
	v_cvt_f32_f16_e32 v18, v18
	v_bfe_u32 v21, v1, 20, 11
	v_mul_f16_e32 v6, v46, v6
	s_wait_alu 0xfffd
	v_cndmask_b32_e32 v19, v13, v12, vcc_lo
	v_cmp_ne_u32_e32 vcc_lo, 0, v0
	v_cvt_f64_f32_e32 v[12:13], v18
	v_mul_f64_e32 v[8:9], s[8:9], v[8:9]
	v_lshrrev_b32_e32 v18, 8, v1
	v_and_b32_e32 v22, 7, v19
	s_wait_alu 0xfffd
	v_cndmask_b32_e64 v0, 0, 1, vcc_lo
	v_cmp_ne_u32_e32 vcc_lo, 0, v4
	v_lshrrev_b32_e32 v19, 2, v19
	v_fma_f16 v6, v45, v14, -v6
	v_cmp_eq_u32_e64 s0, 3, v22
	v_and_or_b32 v0, 0xffe, v18, v0
	s_wait_alu 0xfffd
	v_cndmask_b32_e64 v4, 0, 1, vcc_lo
	v_cmp_gt_i32_e32 vcc_lo, 31, v16
	v_sub_nc_u32_e32 v18, 0x3f1, v21
	v_add_nc_u32_e32 v21, 0xfffffc10, v21
	v_or_b32_e32 v23, 0x1000, v0
	v_lshl_or_b32 v4, v4, 9, 0x7c00
	s_wait_alu 0xfffd
	v_cndmask_b32_e32 v10, 0x7c00, v10, vcc_lo
	v_cmp_lt_i32_e32 vcc_lo, 5, v22
	v_med3_i32 v18, v18, 0, 13
	v_cvt_f32_f16_e32 v6, v6
	s_delay_alu instid0(VALU_DEP_4) | instskip(SKIP_1) | instid1(VALU_DEP_3)
	v_cndmask_b32_e64 v4, v10, v4, s1
	s_or_b32 vcc_lo, s0, vcc_lo
	v_lshrrev_b32_e32 v10, v18, v23
	s_wait_alu 0xfffe
	v_add_co_ci_u32_e32 v16, vcc_lo, 0, v19, vcc_lo
	v_cmp_ne_u32_e32 vcc_lo, 0, v20
	v_and_or_b32 v20, 0x8000, v5, v4
	v_lshlrev_b32_e32 v18, v18, v10
	s_wait_alu 0xfffd
	v_cndmask_b32_e64 v19, 0, 1, vcc_lo
	v_cmp_gt_i32_e32 vcc_lo, 31, v15
	s_delay_alu instid0(VALU_DEP_2)
	v_lshl_or_b32 v19, v19, 9, 0x7c00
	s_wait_alu 0xfffd
	v_cndmask_b32_e32 v16, 0x7c00, v16, vcc_lo
	v_cmp_ne_u32_e32 vcc_lo, v18, v23
	v_mul_f64_e32 v[4:5], s[8:9], v[12:13]
	v_lshl_or_b32 v12, v21, 12, v0
	v_and_or_b32 v8, 0x1ff, v9, v8
	v_lshrrev_b32_e32 v13, 8, v9
	s_wait_alu 0xfffd
	v_cndmask_b32_e64 v18, 0, 1, vcc_lo
	v_cmp_eq_u32_e32 vcc_lo, 0x40f, v15
	v_bfe_u32 v14, v9, 20, 11
	s_delay_alu instid0(VALU_DEP_3) | instskip(SKIP_4) | instid1(VALU_DEP_3)
	v_or_b32_e32 v10, v10, v18
	s_wait_alu 0xfffd
	v_cndmask_b32_e32 v15, v16, v19, vcc_lo
	v_cmp_gt_i32_e32 vcc_lo, 1, v21
	v_lshrrev_b32_e32 v18, 16, v7
	v_and_or_b32 v15, 0x8000, v11, v15
	s_wait_alu 0xfffd
	v_cndmask_b32_e32 v12, v12, v10, vcc_lo
	v_cmp_ne_u32_e32 vcc_lo, 0, v8
	v_cvt_f64_f32_e32 v[10:11], v6
	v_sub_nc_u32_e32 v6, 0x3f1, v14
	v_add_nc_u32_e32 v14, 0xfffffc10, v14
	v_and_b32_e32 v16, 7, v12
	s_wait_alu 0xfffd
	v_cndmask_b32_e64 v8, 0, 1, vcc_lo
	v_lshrrev_b32_e32 v12, 2, v12
	v_med3_i32 v6, v6, 0, 13
	v_cmp_lt_i32_e32 vcc_lo, 5, v16
	s_delay_alu instid0(VALU_DEP_4) | instskip(SKIP_3) | instid1(VALU_DEP_4)
	v_and_or_b32 v8, 0xffe, v13, v8
	v_cmp_eq_u32_e64 s0, 3, v16
	v_and_b32_e32 v13, 0xffff, v20
	v_mul_f16_e32 v20, v44, v18
	v_or_b32_e32 v19, 0x1000, v8
	s_delay_alu instid0(VALU_DEP_4) | instskip(NEXT) | instid1(VALU_DEP_3)
	s_or_b32 vcc_lo, s0, vcc_lo
	v_lshl_or_b32 v15, v15, 16, v13
	s_wait_alu 0xfffe
	v_add_co_ci_u32_e32 v12, vcc_lo, 0, v12, vcc_lo
	v_lshrrev_b32_e32 v16, v6, v19
	v_fmac_f16_e32 v20, v43, v7
	v_cmp_ne_u32_e32 vcc_lo, 0, v0
	v_and_or_b32 v4, 0x1ff, v5, v4
	v_mul_f16_e32 v7, v44, v7
	v_lshlrev_b32_e32 v6, v6, v16
	v_cvt_f32_f16_e32 v13, v20
	s_wait_alu 0xfffd
	v_cndmask_b32_e64 v0, 0, 1, vcc_lo
	v_cmp_gt_i32_e32 vcc_lo, 31, v21
	v_bfe_u32 v22, v5, 20, 11
	v_fma_f16 v18, v43, v18, -v7
	v_lshl_or_b32 v23, v14, 12, v8
	v_lshl_or_b32 v0, v0, 9, 0x7c00
	s_wait_alu 0xfffd
	v_cndmask_b32_e32 v20, 0x7c00, v12, vcc_lo
	v_cvt_f64_f32_e32 v[12:13], v13
	v_cmp_ne_u32_e32 vcc_lo, v6, v19
	v_lshrrev_b32_e32 v19, 8, v5
	v_lshrrev_b32_e32 v5, 16, v5
	s_wait_alu 0xfffd
	v_cndmask_b32_e64 v6, 0, 1, vcc_lo
	v_cmp_ne_u32_e32 vcc_lo, 0, v4
	s_delay_alu instid0(VALU_DEP_2)
	v_or_b32_e32 v16, v16, v6
	s_wait_alu 0xfffd
	v_cndmask_b32_e64 v4, 0, 1, vcc_lo
	v_cmp_gt_i32_e32 vcc_lo, 1, v14
	v_mul_f64_e32 v[6:7], s[8:9], v[10:11]
	v_sub_nc_u32_e32 v10, 0x3f1, v22
	v_cvt_f32_f16_e32 v11, v18
	v_and_or_b32 v4, 0xffe, v19, v4
	s_wait_alu 0xfffd
	v_cndmask_b32_e32 v16, v23, v16, vcc_lo
	v_cmp_eq_u32_e32 vcc_lo, 0x40f, v21
	v_med3_i32 v19, v10, 0, 13
	v_cvt_f64_f32_e32 v[10:11], v11
	v_or_b32_e32 v18, 0x1000, v4
	v_and_b32_e32 v23, 7, v16
	s_wait_alu 0xfffd
	v_cndmask_b32_e32 v20, v20, v0, vcc_lo
	v_add_co_u32 v0, vcc_lo, v2, s2
	v_lshrrev_b32_e32 v24, v19, v18
	v_lshrrev_b32_e32 v21, 16, v1
	s_wait_alu 0xfffd
	v_add_co_ci_u32_e32 v1, vcc_lo, s3, v3, vcc_lo
	v_cmp_lt_i32_e32 vcc_lo, 5, v23
	v_cmp_eq_u32_e64 s0, 3, v23
	v_lshrrev_b32_e32 v16, 2, v16
	v_lshlrev_b32_e32 v19, v19, v24
	v_and_or_b32 v20, 0x8000, v21, v20
	s_delay_alu instid0(VALU_DEP_4)
	s_or_b32 vcc_lo, s0, vcc_lo
	v_mul_f64_e32 v[12:13], s[8:9], v[12:13]
	s_wait_alu 0xfffe
	v_add_co_ci_u32_e32 v16, vcc_lo, 0, v16, vcc_lo
	v_cmp_ne_u32_e64 s1, v19, v18
	v_cmp_ne_u32_e32 vcc_lo, 0, v8
	v_add_nc_u32_e32 v19, 0xfffffc10, v22
	s_wait_alu 0xf1ff
	s_delay_alu instid0(VALU_DEP_3)
	v_cndmask_b32_e64 v18, 0, 1, s1
	s_wait_alu 0xfffd
	v_cndmask_b32_e64 v8, 0, 1, vcc_lo
	v_cmp_gt_i32_e32 vcc_lo, 31, v14
	v_lshl_or_b32 v21, v19, 12, v4
	v_or_b32_e32 v18, v24, v18
	s_delay_alu instid0(VALU_DEP_4)
	v_lshl_or_b32 v8, v8, 9, 0x7c00
	s_wait_alu 0xfffd
	v_cndmask_b32_e32 v16, 0x7c00, v16, vcc_lo
	v_cmp_gt_i32_e32 vcc_lo, 1, v19
	v_and_or_b32 v6, 0x1ff, v7, v6
	v_lshrrev_b32_e32 v22, 8, v7
	s_wait_alu 0xfffd
	v_cndmask_b32_e32 v18, v21, v18, vcc_lo
	v_cmp_eq_u32_e32 vcc_lo, 0x40f, v14
	s_wait_alu 0xfffd
	s_delay_alu instid0(VALU_DEP_2)
	v_dual_cndmask_b32 v14, v16, v8 :: v_dual_and_b32 v21, 7, v18
	v_lshrrev_b32_e32 v16, 16, v9
	v_cmp_ne_u32_e32 vcc_lo, 0, v6
	v_mul_f64_e32 v[8:9], s[8:9], v[10:11]
	v_bfe_u32 v10, v7, 20, 11
	v_cmp_eq_u32_e64 s0, 3, v21
	v_and_or_b32 v11, 0x8000, v16, v14
	v_and_b32_e32 v14, 0xffff, v20
	s_wait_alu 0xfffd
	v_cndmask_b32_e64 v6, 0, 1, vcc_lo
	v_cmp_lt_i32_e32 vcc_lo, 5, v21
	v_sub_nc_u32_e32 v16, 0x3f1, v10
	v_and_or_b32 v12, 0x1ff, v13, v12
	v_lshl_or_b32 v11, v11, 16, v14
	v_lshrrev_b32_e32 v14, 2, v18
	v_and_or_b32 v6, 0xffe, v22, v6
	s_or_b32 vcc_lo, s0, vcc_lo
	v_med3_i32 v16, v16, 0, 13
	v_lshrrev_b32_e32 v21, 8, v13
	s_wait_alu 0xfffe
	v_add_co_ci_u32_e32 v14, vcc_lo, 0, v14, vcc_lo
	v_or_b32_e32 v18, 0x1000, v6
	v_cmp_ne_u32_e32 vcc_lo, 0, v4
	v_bfe_u32 v22, v13, 20, 11
	v_add_nc_u32_e32 v10, 0xfffffc10, v10
	v_lshrrev_b32_e32 v7, 16, v7
	v_lshrrev_b32_e32 v20, v16, v18
	s_wait_alu 0xfffd
	v_cndmask_b32_e64 v4, 0, 1, vcc_lo
	v_cmp_gt_i32_e32 vcc_lo, 31, v19
	s_delay_alu instid0(VALU_DEP_3) | instskip(NEXT) | instid1(VALU_DEP_3)
	v_lshlrev_b32_e32 v16, v16, v20
	v_lshl_or_b32 v4, v4, 9, 0x7c00
	s_wait_alu 0xfffd
	v_cndmask_b32_e32 v14, 0x7c00, v14, vcc_lo
	v_cmp_ne_u32_e32 vcc_lo, 0, v12
	s_wait_alu 0xfffd
	v_cndmask_b32_e64 v12, 0, 1, vcc_lo
	v_cmp_ne_u32_e32 vcc_lo, v16, v18
	v_sub_nc_u32_e32 v18, 0x3f1, v22
	v_and_or_b32 v8, 0x1ff, v9, v8
	s_delay_alu instid0(VALU_DEP_4)
	v_and_or_b32 v12, 0xffe, v21, v12
	s_wait_alu 0xfffd
	v_cndmask_b32_e64 v16, 0, 1, vcc_lo
	v_cmp_eq_u32_e32 vcc_lo, 0x40f, v19
	v_med3_i32 v18, v18, 0, 13
	v_bfe_u32 v21, v9, 20, 11
	v_or_b32_e32 v19, 0x1000, v12
	s_wait_alu 0xfffd
	v_cndmask_b32_e32 v4, v14, v4, vcc_lo
	v_or_b32_e32 v14, v20, v16
	v_lshl_or_b32 v16, v10, 12, v6
	v_cmp_gt_i32_e32 vcc_lo, 1, v10
	v_lshrrev_b32_e32 v20, 8, v9
	v_and_or_b32 v4, 0x8000, v5, v4
	v_lshrrev_b32_e32 v9, 16, v9
	s_wait_alu 0xfffd
	v_cndmask_b32_e32 v14, v16, v14, vcc_lo
	v_lshrrev_b32_e32 v16, v18, v19
	v_cmp_ne_u32_e32 vcc_lo, 0, v8
	s_delay_alu instid0(VALU_DEP_3) | instskip(NEXT) | instid1(VALU_DEP_3)
	v_and_b32_e32 v23, 7, v14
	v_lshlrev_b32_e32 v18, v18, v16
	s_wait_alu 0xfffd
	v_cndmask_b32_e64 v8, 0, 1, vcc_lo
	v_lshrrev_b32_e32 v14, 2, v14
	v_cmp_lt_i32_e32 vcc_lo, 5, v23
	v_cmp_ne_u32_e64 s0, v18, v19
	s_delay_alu instid0(VALU_DEP_4)
	v_and_or_b32 v5, 0xffe, v20, v8
	v_sub_nc_u32_e32 v8, 0x3f1, v21
	v_add_nc_u32_e32 v20, 0xfffffc10, v22
	s_wait_alu 0xf1ff
	v_cndmask_b32_e64 v18, 0, 1, s0
	v_cmp_eq_u32_e64 s0, 3, v23
	v_or_b32_e32 v19, 0x1000, v5
	v_med3_i32 v8, v8, 0, 13
	v_lshl_or_b32 v22, v20, 12, v12
	v_or_b32_e32 v16, v16, v18
	s_or_b32 vcc_lo, s0, vcc_lo
	s_wait_alu 0xfffe
	v_add_co_ci_u32_e32 v14, vcc_lo, 0, v14, vcc_lo
	v_lshrrev_b32_e32 v18, v8, v19
	v_cmp_gt_i32_e32 vcc_lo, 1, v20
	s_delay_alu instid0(VALU_DEP_2)
	v_lshlrev_b32_e32 v8, v8, v18
	s_wait_alu 0xfffd
	v_cndmask_b32_e32 v16, v22, v16, vcc_lo
	v_cmp_ne_u32_e32 vcc_lo, 0, v6
	s_wait_alu 0xfffd
	v_cndmask_b32_e64 v6, 0, 1, vcc_lo
	v_cmp_ne_u32_e32 vcc_lo, v8, v19
	v_add_nc_u32_e32 v19, 0xfffffc10, v21
	v_and_b32_e32 v21, 7, v16
	s_delay_alu instid0(VALU_DEP_4)
	v_lshl_or_b32 v6, v6, 9, 0x7c00
	s_wait_alu 0xfffd
	v_cndmask_b32_e64 v8, 0, 1, vcc_lo
	v_cmp_gt_i32_e32 vcc_lo, 31, v10
	v_cmp_gt_i32_e64 s1, 1, v19
	v_cmp_eq_u32_e64 s0, 3, v21
	s_delay_alu instid0(VALU_DEP_4)
	v_or_b32_e32 v8, v18, v8
	v_lshl_or_b32 v18, v19, 12, v5
	s_wait_alu 0xfffd
	v_cndmask_b32_e32 v14, 0x7c00, v14, vcc_lo
	v_cmp_lt_i32_e32 vcc_lo, 5, v21
	s_wait_alu 0xf1ff
	v_cndmask_b32_e64 v8, v18, v8, s1
	v_cmp_eq_u32_e64 s1, 0x40f, v10
	v_lshrrev_b32_e32 v10, 2, v16
	s_or_b32 vcc_lo, s0, vcc_lo
	s_delay_alu instid0(VALU_DEP_2) | instskip(SKIP_1) | instid1(VALU_DEP_2)
	v_cndmask_b32_e64 v6, v14, v6, s1
	s_wait_alu 0xfffe
	v_add_co_ci_u32_e32 v10, vcc_lo, 0, v10, vcc_lo
	v_and_b32_e32 v14, 7, v8
	v_cmp_ne_u32_e32 vcc_lo, 0, v12
	v_lshrrev_b32_e32 v8, 2, v8
	v_cmp_gt_i32_e64 s1, 31, v20
	v_and_or_b32 v6, 0x8000, v7, v6
	v_and_b32_e32 v7, 0xffff, v4
	s_wait_alu 0xfffd
	v_cndmask_b32_e64 v12, 0, 1, vcc_lo
	v_cmp_lt_i32_e32 vcc_lo, 5, v14
	v_cmp_eq_u32_e64 s0, 3, v14
	s_wait_alu 0xf1ff
	v_cndmask_b32_e64 v10, 0x7c00, v10, s1
	v_lshl_or_b32 v12, v12, 9, 0x7c00
	s_delay_alu instid0(VALU_DEP_3)
	s_or_b32 vcc_lo, s0, vcc_lo
	s_wait_alu 0xfffe
	v_add_co_ci_u32_e32 v8, vcc_lo, 0, v8, vcc_lo
	v_cmp_ne_u32_e32 vcc_lo, 0, v5
	s_wait_alu 0xfffd
	v_cndmask_b32_e64 v5, 0, 1, vcc_lo
	v_cmp_eq_u32_e32 vcc_lo, 0x40f, v20
	s_delay_alu instid0(VALU_DEP_2)
	v_lshl_or_b32 v5, v5, 9, 0x7c00
	s_wait_alu 0xfffd
	v_cndmask_b32_e32 v10, v10, v12, vcc_lo
	v_cmp_gt_i32_e32 vcc_lo, 31, v19
	v_lshrrev_b32_e32 v12, 16, v13
	s_wait_alu 0xfffd
	v_cndmask_b32_e32 v8, 0x7c00, v8, vcc_lo
	v_cmp_eq_u32_e32 vcc_lo, 0x40f, v19
	s_delay_alu instid0(VALU_DEP_3)
	v_and_or_b32 v10, 0x8000, v12, v10
	v_lshl_or_b32 v12, v6, 16, v7
	s_wait_alu 0xfffd
	v_cndmask_b32_e32 v8, v8, v5, vcc_lo
	v_add_co_u32 v4, vcc_lo, v0, s2
	s_wait_alu 0xfffd
	v_add_co_ci_u32_e32 v5, vcc_lo, s3, v1, vcc_lo
	s_delay_alu instid0(VALU_DEP_3) | instskip(SKIP_4) | instid1(VALU_DEP_3)
	v_and_or_b32 v8, 0x8000, v9, v8
	v_and_b32_e32 v9, 0xffff, v10
	v_add_co_u32 v6, vcc_lo, v4, s2
	s_wait_alu 0xfffd
	v_add_co_ci_u32_e32 v7, vcc_lo, s3, v5, vcc_lo
	v_lshl_or_b32 v10, v8, 16, v9
	s_delay_alu instid0(VALU_DEP_3) | instskip(SKIP_1) | instid1(VALU_DEP_3)
	v_add_co_u32 v8, vcc_lo, v6, s2
	s_wait_alu 0xfffd
	v_add_co_ci_u32_e32 v9, vcc_lo, s3, v7, vcc_lo
	global_store_b32 v[2:3], v17, off
	global_store_b32 v[0:1], v15, off
	;; [unrolled: 1-line block ×5, first 2 shown]
.LBB0_10:
	s_nop 0
	s_sendmsg sendmsg(MSG_DEALLOC_VGPRS)
	s_endpgm
	.section	.rodata,"a",@progbits
	.p2align	6, 0x0
	.amdhsa_kernel bluestein_single_back_len272_dim1_half_op_CI_CI
		.amdhsa_group_segment_fixed_size 7616
		.amdhsa_private_segment_fixed_size 0
		.amdhsa_kernarg_size 104
		.amdhsa_user_sgpr_count 2
		.amdhsa_user_sgpr_dispatch_ptr 0
		.amdhsa_user_sgpr_queue_ptr 0
		.amdhsa_user_sgpr_kernarg_segment_ptr 1
		.amdhsa_user_sgpr_dispatch_id 0
		.amdhsa_user_sgpr_private_segment_size 0
		.amdhsa_wavefront_size32 1
		.amdhsa_uses_dynamic_stack 0
		.amdhsa_enable_private_segment 0
		.amdhsa_system_sgpr_workgroup_id_x 1
		.amdhsa_system_sgpr_workgroup_id_y 0
		.amdhsa_system_sgpr_workgroup_id_z 0
		.amdhsa_system_sgpr_workgroup_info 0
		.amdhsa_system_vgpr_workitem_id 0
		.amdhsa_next_free_vgpr 228
		.amdhsa_next_free_sgpr 20
		.amdhsa_reserve_vcc 1
		.amdhsa_float_round_mode_32 0
		.amdhsa_float_round_mode_16_64 0
		.amdhsa_float_denorm_mode_32 3
		.amdhsa_float_denorm_mode_16_64 3
		.amdhsa_fp16_overflow 0
		.amdhsa_workgroup_processor_mode 1
		.amdhsa_memory_ordered 1
		.amdhsa_forward_progress 0
		.amdhsa_round_robin_scheduling 0
		.amdhsa_exception_fp_ieee_invalid_op 0
		.amdhsa_exception_fp_denorm_src 0
		.amdhsa_exception_fp_ieee_div_zero 0
		.amdhsa_exception_fp_ieee_overflow 0
		.amdhsa_exception_fp_ieee_underflow 0
		.amdhsa_exception_fp_ieee_inexact 0
		.amdhsa_exception_int_div_zero 0
	.end_amdhsa_kernel
	.text
.Lfunc_end0:
	.size	bluestein_single_back_len272_dim1_half_op_CI_CI, .Lfunc_end0-bluestein_single_back_len272_dim1_half_op_CI_CI
                                        ; -- End function
	.section	.AMDGPU.csdata,"",@progbits
; Kernel info:
; codeLenInByte = 30040
; NumSgprs: 22
; NumVgprs: 228
; ScratchSize: 0
; MemoryBound: 0
; FloatMode: 240
; IeeeMode: 1
; LDSByteSize: 7616 bytes/workgroup (compile time only)
; SGPRBlocks: 2
; VGPRBlocks: 28
; NumSGPRsForWavesPerEU: 22
; NumVGPRsForWavesPerEU: 228
; Occupancy: 6
; WaveLimiterHint : 1
; COMPUTE_PGM_RSRC2:SCRATCH_EN: 0
; COMPUTE_PGM_RSRC2:USER_SGPR: 2
; COMPUTE_PGM_RSRC2:TRAP_HANDLER: 0
; COMPUTE_PGM_RSRC2:TGID_X_EN: 1
; COMPUTE_PGM_RSRC2:TGID_Y_EN: 0
; COMPUTE_PGM_RSRC2:TGID_Z_EN: 0
; COMPUTE_PGM_RSRC2:TIDIG_COMP_CNT: 0
	.text
	.p2alignl 7, 3214868480
	.fill 96, 4, 3214868480
	.type	__hip_cuid_8b8f4b5653c6570,@object ; @__hip_cuid_8b8f4b5653c6570
	.section	.bss,"aw",@nobits
	.globl	__hip_cuid_8b8f4b5653c6570
__hip_cuid_8b8f4b5653c6570:
	.byte	0                               ; 0x0
	.size	__hip_cuid_8b8f4b5653c6570, 1

	.ident	"AMD clang version 19.0.0git (https://github.com/RadeonOpenCompute/llvm-project roc-6.4.0 25133 c7fe45cf4b819c5991fe208aaa96edf142730f1d)"
	.section	".note.GNU-stack","",@progbits
	.addrsig
	.addrsig_sym __hip_cuid_8b8f4b5653c6570
	.amdgpu_metadata
---
amdhsa.kernels:
  - .args:
      - .actual_access:  read_only
        .address_space:  global
        .offset:         0
        .size:           8
        .value_kind:     global_buffer
      - .actual_access:  read_only
        .address_space:  global
        .offset:         8
        .size:           8
        .value_kind:     global_buffer
      - .actual_access:  read_only
        .address_space:  global
        .offset:         16
        .size:           8
        .value_kind:     global_buffer
      - .actual_access:  read_only
        .address_space:  global
        .offset:         24
        .size:           8
        .value_kind:     global_buffer
      - .actual_access:  read_only
        .address_space:  global
        .offset:         32
        .size:           8
        .value_kind:     global_buffer
      - .offset:         40
        .size:           8
        .value_kind:     by_value
      - .address_space:  global
        .offset:         48
        .size:           8
        .value_kind:     global_buffer
      - .address_space:  global
        .offset:         56
        .size:           8
        .value_kind:     global_buffer
      - .address_space:  global
        .offset:         64
        .size:           8
        .value_kind:     global_buffer
      - .address_space:  global
        .offset:         72
        .size:           8
        .value_kind:     global_buffer
      - .offset:         80
        .size:           4
        .value_kind:     by_value
      - .address_space:  global
        .offset:         88
        .size:           8
        .value_kind:     global_buffer
      - .address_space:  global
        .offset:         96
        .size:           8
        .value_kind:     global_buffer
    .group_segment_fixed_size: 7616
    .kernarg_segment_align: 8
    .kernarg_segment_size: 104
    .language:       OpenCL C
    .language_version:
      - 2
      - 0
    .max_flat_workgroup_size: 119
    .name:           bluestein_single_back_len272_dim1_half_op_CI_CI
    .private_segment_fixed_size: 0
    .sgpr_count:     22
    .sgpr_spill_count: 0
    .symbol:         bluestein_single_back_len272_dim1_half_op_CI_CI.kd
    .uniform_work_group_size: 1
    .uses_dynamic_stack: false
    .vgpr_count:     228
    .vgpr_spill_count: 0
    .wavefront_size: 32
    .workgroup_processor_mode: 1
amdhsa.target:   amdgcn-amd-amdhsa--gfx1201
amdhsa.version:
  - 1
  - 2
...

	.end_amdgpu_metadata
